;; amdgpu-corpus repo=ROCm/rocFFT kind=compiled arch=gfx1201 opt=O3
	.text
	.amdgcn_target "amdgcn-amd-amdhsa--gfx1201"
	.amdhsa_code_object_version 6
	.protected	bluestein_single_fwd_len2916_dim1_half_op_CI_CI ; -- Begin function bluestein_single_fwd_len2916_dim1_half_op_CI_CI
	.globl	bluestein_single_fwd_len2916_dim1_half_op_CI_CI
	.p2align	8
	.type	bluestein_single_fwd_len2916_dim1_half_op_CI_CI,@function
bluestein_single_fwd_len2916_dim1_half_op_CI_CI: ; @bluestein_single_fwd_len2916_dim1_half_op_CI_CI
; %bb.0:
	s_load_b128 s[16:19], s[0:1], 0x28
	v_mul_u32_u24_e32 v1, 0x10e, v0
	s_mov_b32 s2, exec_lo
	v_mov_b32_e32 v9, 0
	s_delay_alu instid0(VALU_DEP_2) | instskip(NEXT) | instid1(VALU_DEP_1)
	v_lshrrev_b32_e32 v1, 16, v1
	v_add_nc_u32_e32 v8, ttmp9, v1
	s_wait_kmcnt 0x0
	s_delay_alu instid0(VALU_DEP_1)
	v_cmpx_gt_u64_e64 s[16:17], v[8:9]
	s_cbranch_execz .LBB0_2
; %bb.1:
	s_clause 0x1
	s_load_b128 s[4:7], s[0:1], 0x18
	s_load_b128 s[8:11], s[0:1], 0x0
	v_mul_lo_u16 v1, 0xf3, v1
	s_load_b64 s[0:1], s[0:1], 0x38
	s_delay_alu instid0(VALU_DEP_1) | instskip(NEXT) | instid1(VALU_DEP_1)
	v_sub_nc_u16 v27, v0, v1
	v_and_b32_e32 v64, 0xffff, v27
	s_wait_kmcnt 0x0
	s_load_b128 s[12:15], s[4:5], 0x0
	s_wait_kmcnt 0x0
	v_mad_co_u64_u32 v[0:1], null, s14, v8, 0
	v_mad_co_u64_u32 v[2:3], null, s12, v64, 0
	s_mul_i32 s4, s13, 0xffffddd4
	s_mul_u64 s[2:3], s[12:13], 0x798
	s_sub_co_i32 s4, s4, s12
	s_delay_alu instid0(VALU_DEP_1) | instskip(NEXT) | instid1(VALU_DEP_1)
	v_mad_co_u64_u32 v[4:5], null, s15, v8, v[1:2]
	v_mov_b32_e32 v1, v4
	s_delay_alu instid0(VALU_DEP_3)
	v_mad_co_u64_u32 v[5:6], null, s13, v64, v[3:4]
	v_lshlrev_b32_e32 v51, 2, v64
	s_clause 0x1
	global_load_b32 v55, v51, s[8:9]
	global_load_b32 v52, v51, s[8:9] offset:7776
	v_mov_b32_e32 v3, v5
	v_lshlrev_b64_e32 v[0:1], 2, v[0:1]
	s_clause 0x9
	global_load_b32 v53, v51, s[8:9] offset:6804
	global_load_b32 v58, v51, s[8:9] offset:5832
	;; [unrolled: 1-line block ×10, first 2 shown]
	v_lshlrev_b64_e32 v[2:3], 2, v[2:3]
	v_add_nc_u32_e32 v79, 0x1e40, v51
	v_add_co_u32 v0, vcc_lo, s18, v0
	v_add_co_ci_u32_e32 v1, vcc_lo, s19, v1, vcc_lo
	v_add_nc_u32_e32 v77, 0x25e0, v51
	s_delay_alu instid0(VALU_DEP_3) | instskip(SKIP_1) | instid1(VALU_DEP_3)
	v_add_co_u32 v0, vcc_lo, v0, v2
	s_wait_alu 0xfffd
	v_add_co_ci_u32_e32 v1, vcc_lo, v1, v3, vcc_lo
	v_add_nc_u32_e32 v81, 0x780, v51
	s_delay_alu instid0(VALU_DEP_3) | instskip(SKIP_1) | instid1(VALU_DEP_3)
	v_add_co_u32 v2, vcc_lo, v0, s2
	s_wait_alu 0xfffd
	v_add_co_ci_u32_e32 v3, vcc_lo, s3, v1, vcc_lo
	global_load_b32 v7, v[0:1], off
	v_add_nc_u32_e32 v78, 0xf00, v51
	v_add_nc_u32_e32 v80, 0x16c0, v51
	global_load_b32 v9, v[2:3], off
	v_add_co_u32 v0, vcc_lo, v2, s2
	s_wait_alu 0xfffd
	v_add_co_ci_u32_e32 v1, vcc_lo, s3, v3, vcc_lo
	s_delay_alu instid0(VALU_DEP_2) | instskip(SKIP_1) | instid1(VALU_DEP_2)
	v_add_co_u32 v4, vcc_lo, v0, s2
	s_wait_alu 0xfffd
	v_add_co_ci_u32_e32 v5, vcc_lo, s3, v1, vcc_lo
	global_load_b32 v10, v[0:1], off
	v_add_co_u32 v2, vcc_lo, v4, s2
	s_wait_alu 0xfffd
	v_add_co_ci_u32_e32 v3, vcc_lo, s3, v5, vcc_lo
	s_clause 0x1
	global_load_b32 v6, v[4:5], off
	global_load_b32 v11, v[2:3], off
	v_add_co_u32 v0, vcc_lo, v2, s2
	s_wait_alu 0xfffd
	v_add_co_ci_u32_e32 v1, vcc_lo, s3, v3, vcc_lo
	s_delay_alu instid0(VALU_DEP_1) | instskip(SKIP_4) | instid1(VALU_DEP_2)
	v_mad_co_u64_u32 v[13:14], null, 0xffffddd4, s12, v[0:1]
	global_load_b32 v12, v[0:1], off
	v_add_nc_u32_e32 v14, s4, v14
	v_add_co_u32 v0, vcc_lo, v13, s2
	s_wait_alu 0xfffd
	v_add_co_ci_u32_e32 v1, vcc_lo, s3, v14, vcc_lo
	global_load_b32 v4, v[13:14], off
	global_load_b32 v5, v[0:1], off
	v_add_co_u32 v0, vcc_lo, v0, s2
	s_wait_alu 0xfffd
	v_add_co_ci_u32_e32 v1, vcc_lo, s3, v1, vcc_lo
	s_delay_alu instid0(VALU_DEP_2) | instskip(SKIP_1) | instid1(VALU_DEP_2)
	v_add_co_u32 v13, vcc_lo, v0, s2
	s_wait_alu 0xfffd
	v_add_co_ci_u32_e32 v14, vcc_lo, s3, v1, vcc_lo
	global_load_b32 v3, v[0:1], off
	v_add_co_u32 v1, vcc_lo, v13, s2
	s_wait_alu 0xfffd
	v_add_co_ci_u32_e32 v2, vcc_lo, s3, v14, vcc_lo
	global_load_b32 v0, v[13:14], off
	;; [unrolled: 4-line block ×3, first 2 shown]
	global_load_b32 v1, v[13:14], off
	v_add_co_u32 v28, s2, 0xf3, v64
	s_load_b128 s[4:7], s[6:7], 0x0
	v_cmp_gt_u16_e32 vcc_lo, 0x51, v27
	v_and_b32_e32 v26, 0xff, v27
	s_delay_alu instid0(VALU_DEP_3) | instskip(SKIP_2) | instid1(VALU_DEP_4)
	v_and_b32_e32 v20, 0xffff, v28
	v_mul_lo_u16 v13, v27, 6
	v_add_co_ci_u32_e64 v17, null, 0, 0, s2
	v_mul_lo_u16 v15, 0xab, v26
	s_delay_alu instid0(VALU_DEP_4) | instskip(NEXT) | instid1(VALU_DEP_4)
	v_mul_u32_u24_e32 v14, 0xaaab, v20
	v_and_b32_e32 v13, 0xffff, v13
	s_delay_alu instid0(VALU_DEP_3) | instskip(NEXT) | instid1(VALU_DEP_3)
	v_lshrrev_b16 v22, 10, v15
	v_lshrrev_b32_e32 v21, 18, v14
	s_delay_alu instid0(VALU_DEP_3) | instskip(NEXT) | instid1(VALU_DEP_3)
	v_lshlrev_b32_e32 v42, 2, v13
	v_mul_lo_u16 v15, v22, 6
	s_delay_alu instid0(VALU_DEP_3) | instskip(NEXT) | instid1(VALU_DEP_1)
	v_mul_lo_u16 v14, v21, 6
	v_sub_nc_u16 v23, v28, v14
	s_wait_loadcnt 0x15
	v_lshrrev_b32_e32 v69, 16, v53
	s_wait_loadcnt 0x14
	v_lshrrev_b32_e32 v73, 16, v58
	v_lshrrev_b32_e32 v75, 16, v55
	s_wait_loadcnt 0x12
	v_lshrrev_b32_e32 v74, 16, v60
	;; [unrolled: 3-line block ×3, first 2 shown]
	s_wait_loadcnt 0xe
	v_lshrrev_b32_e32 v65, 16, v59
	v_lshrrev_b32_e32 v66, 16, v57
	;; [unrolled: 1-line block ×4, first 2 shown]
	s_wait_loadcnt 0xc
	v_lshrrev_b32_e32 v70, 16, v63
	v_lshrrev_b32_e32 v71, 16, v62
	s_wait_loadcnt 0xb
	v_lshrrev_b32_e32 v14, 16, v7
	v_mul_f16_e32 v16, v75, v7
	s_wait_loadcnt 0xa
	v_lshrrev_b32_e32 v19, 16, v9
	v_mul_f16_e32 v24, v76, v9
	v_mul_f16_e32 v18, v75, v14
	v_fma_f16 v14, v55, v14, -v16
	s_delay_alu instid0(VALU_DEP_2)
	v_fmac_f16_e32 v18, v55, v7
	v_mul_f16_e32 v7, v76, v19
	v_fma_f16 v19, v61, v19, -v24
	s_wait_loadcnt 0x9
	v_lshrrev_b32_e32 v16, 16, v10
	v_mul_f16_e32 v24, v74, v10
	v_pack_b32_f16 v14, v18, v14
	v_fmac_f16_e32 v7, v61, v9
	s_delay_alu instid0(VALU_DEP_4)
	v_mul_f16_e32 v9, v74, v16
	s_wait_loadcnt 0x8
	v_lshrrev_b32_e32 v18, 16, v6
	v_fma_f16 v16, v60, v16, -v24
	v_mul_f16_e32 v24, v73, v6
	v_pack_b32_f16 v7, v7, v19
	v_fmac_f16_e32 v9, v60, v10
	v_mul_f16_e32 v10, v73, v18
	s_wait_loadcnt 0x7
	v_lshrrev_b32_e32 v19, 16, v11
	v_fma_f16 v18, v58, v18, -v24
	v_mul_f16_e32 v25, v72, v11
	v_pack_b32_f16 v9, v9, v16
	v_fmac_f16_e32 v10, v58, v6
	v_mul_f16_e32 v16, v72, v19
	s_wait_loadcnt 0x6
	v_lshrrev_b32_e32 v24, 16, v12
	v_mul_f16_e32 v29, v65, v12
	v_fma_f16 v6, v52, v19, -v25
	v_pack_b32_f16 v10, v10, v18
	v_fmac_f16_e32 v16, v52, v11
	v_mul_f16_e32 v30, v65, v24
	v_fma_f16 v11, v59, v24, -v29
	s_delay_alu instid0(VALU_DEP_3) | instskip(NEXT) | instid1(VALU_DEP_3)
	v_pack_b32_f16 v6, v16, v6
	v_fmac_f16_e32 v30, v59, v12
	s_wait_loadcnt 0x5
	v_lshrrev_b32_e32 v12, 16, v4
	v_mul_f16_e32 v18, v66, v4
	s_delay_alu instid0(VALU_DEP_3)
	v_pack_b32_f16 v11, v30, v11
	s_wait_loadcnt 0x4
	v_lshrrev_b32_e32 v19, 16, v5
	ds_store_b32 v51, v7 offset:1944
	ds_store_b32 v51, v9 offset:3888
	;; [unrolled: 1-line block ×5, first 2 shown]
	v_mul_f16_e32 v16, v66, v12
	v_fma_f16 v12, v57, v12, -v18
	v_mul_f16_e32 v18, v67, v5
	s_delay_alu instid0(VALU_DEP_3) | instskip(SKIP_1) | instid1(VALU_DEP_3)
	v_fmac_f16_e32 v16, v57, v4
	v_mul_f16_e32 v4, v67, v19
	v_fma_f16 v9, v56, v19, -v18
	s_wait_loadcnt 0x3
	v_lshrrev_b32_e32 v6, 16, v3
	v_mul_f16_e32 v7, v68, v3
	v_pack_b32_f16 v10, v16, v12
	v_fmac_f16_e32 v4, v56, v5
	s_delay_alu instid0(VALU_DEP_4) | instskip(NEXT) | instid1(VALU_DEP_4)
	v_mul_f16_e32 v5, v68, v6
	v_fma_f16 v6, v54, v6, -v7
	s_wait_loadcnt 0x2
	v_lshrrev_b32_e32 v7, 16, v0
	v_mul_f16_e32 v11, v69, v0
	ds_store_2addr_b32 v51, v14, v10 offset1:243
	v_fmac_f16_e32 v5, v54, v3
	s_wait_loadcnt 0x1
	v_lshrrev_b32_e32 v3, 16, v2
	s_wait_loadcnt 0x0
	v_lshrrev_b32_e32 v12, 16, v1
	v_mul_f16_e32 v10, v69, v7
	v_fma_f16 v7, v53, v7, -v11
	v_mul_f16_e32 v11, v70, v2
	v_mul_f16_e32 v14, v70, v3
	v_mul_f16_e32 v16, v71, v1
	v_mul_f16_e32 v18, v71, v12
	v_fmac_f16_e32 v10, v53, v0
	v_fma_f16 v0, v63, v3, -v11
	v_fmac_f16_e32 v14, v63, v2
	v_fma_f16 v2, v62, v12, -v16
	v_fmac_f16_e32 v18, v62, v1
	v_pack_b32_f16 v1, v4, v9
	v_pack_b32_f16 v3, v5, v6
	;; [unrolled: 1-line block ×5, first 2 shown]
	ds_store_b32 v51, v1 offset:2916
	ds_store_b32 v51, v3 offset:4860
	;; [unrolled: 1-line block ×5, first 2 shown]
	global_wb scope:SCOPE_SE
	s_wait_dscnt 0x0
	s_wait_kmcnt 0x0
	s_barrier_signal -1
	s_barrier_wait -1
	global_inv scope:SCOPE_SE
	ds_load_2addr_b32 v[0:1], v51 offset1:243
	ds_load_2addr_b32 v[2:3], v81 offset0:6 offset1:249
	ds_load_2addr_b32 v[4:5], v78 offset0:12 offset1:255
	;; [unrolled: 1-line block ×5, first 2 shown]
	v_sub_nc_u16 v14, v27, v15
	v_mul_lo_u16 v15, v23, 20
	v_mul_u32_u24_e32 v16, 6, v28
	global_wb scope:SCOPE_SE
	s_wait_dscnt 0x0
	s_barrier_signal -1
	v_and_b32_e32 v24, 0xff, v14
	v_and_b32_e32 v15, 0xffff, v15
	v_lshlrev_b32_e32 v41, 2, v16
	s_barrier_wait -1
	global_inv scope:SCOPE_SE
	v_mad_co_u64_u32 v[13:14], null, v24, 20, s[10:11]
	v_add_co_u32 v15, s2, s10, v15
	s_wait_alu 0xf1ff
	v_add_co_ci_u32_e64 v16, null, s11, 0, s2
	v_pk_add_f16 v18, v1, v5
	v_pk_add_f16 v19, v3, v7
	;; [unrolled: 1-line block ×4, first 2 shown]
	v_pk_add_f16 v4, v4, v9 neg_lo:[0,1] neg_hi:[0,1]
	v_pk_add_f16 v31, v6, v11
	v_pk_add_f16 v29, v2, v6
	v_pk_add_f16 v33, v7, v12
	v_pk_add_f16 v6, v6, v11 neg_lo:[0,1] neg_hi:[0,1]
	v_pk_add_f16 v32, v5, v10
	v_pk_add_f16 v5, v5, v10 neg_lo:[0,1] neg_hi:[0,1]
	v_pk_add_f16 v7, v7, v12 neg_lo:[0,1] neg_hi:[0,1]
	v_pk_add_f16 v10, v18, v10
	v_pk_add_f16 v12, v19, v12
	v_pk_fma_f16 v18, v30, 0.5, v0 op_sel_hi:[1,0,1] neg_lo:[1,0,0] neg_hi:[1,0,0]
	v_pk_mul_f16 v4, 0x3aee, v4 op_sel_hi:[0,1]
	v_pk_fma_f16 v19, v31, 0.5, v2 op_sel_hi:[1,0,1] neg_lo:[1,0,0] neg_hi:[1,0,0]
	v_pk_add_f16 v9, v25, v9
	v_pk_add_f16 v11, v29, v11
	v_pk_fma_f16 v3, v33, 0.5, v3 op_sel_hi:[1,0,1] neg_lo:[1,0,0] neg_hi:[1,0,0]
	v_pk_fma_f16 v1, v32, 0.5, v1 op_sel_hi:[1,0,1] neg_lo:[1,0,0] neg_hi:[1,0,0]
	v_pk_mul_f16 v25, 0x3aee, v5 op_sel_hi:[0,1]
	v_pk_add_f16 v29, v18, v4 op_sel:[0,1] op_sel_hi:[1,0]
	v_pk_add_f16 v18, v18, v4 op_sel:[0,1] op_sel_hi:[1,0] neg_lo:[0,1] neg_hi:[0,1]
	v_pk_fma_f16 v4, 0x3aee, v6, v19 op_sel:[0,0,1] op_sel_hi:[0,1,0]
	v_pk_fma_f16 v6, 0x3aee, v6, v19 op_sel:[0,0,1] op_sel_hi:[0,1,0] neg_lo:[0,1,0] neg_hi:[0,1,0]
	v_pk_add_f16 v2, v9, v11
	v_pk_add_f16 v5, v9, v11 neg_lo:[0,1] neg_hi:[0,1]
	v_pk_fma_f16 v11, 0x3aee, v7, v3 op_sel:[0,0,1] op_sel_hi:[0,1,0]
	v_pk_fma_f16 v3, 0x3aee, v7, v3 op_sel:[0,0,1] op_sel_hi:[0,1,0] neg_lo:[0,1,0] neg_hi:[0,1,0]
	v_pk_add_f16 v9, v1, v25 op_sel:[0,1] op_sel_hi:[1,0]
	v_pk_add_f16 v1, v1, v25 op_sel:[0,1] op_sel_hi:[1,0] neg_lo:[0,1] neg_hi:[0,1]
	v_lshrrev_b32_e32 v19, 16, v4
	v_bfi_b32 v4, 0xffff, v4, v6
	v_mul_f16_e32 v25, 0x3aee, v6
	v_lshrrev_b32_e32 v33, 16, v11
	v_bfi_b32 v11, 0xffff, v11, v3
	v_mul_f16_e32 v34, 0x3aee, v3
	v_pk_mul_f16 v36, v4, 0.5 op_sel_hi:[1,0]
	v_fmac_f16_e32 v25, 0.5, v19
	v_mul_f16_e32 v19, 0xbaee, v19
	v_pk_mul_f16 v37, v11, 0.5 op_sel_hi:[1,0]
	v_fmac_f16_e32 v34, 0.5, v33
	v_mul_f16_e32 v33, 0xbaee, v33
	v_pk_add_f16 v0, v10, v12
	v_pk_add_f16 v7, v10, v12 neg_lo:[0,1] neg_hi:[0,1]
	v_lshrrev_b32_e32 v10, 16, v18
	v_bfi_b32 v12, 0xffff, v18, v29
	v_fmac_f16_e32 v19, 0.5, v6
	v_pk_fma_f16 v6, 0xbaee3aee, v4, v36 op_sel:[0,0,1] op_sel_hi:[1,1,0] neg_lo:[0,0,1] neg_hi:[0,0,1]
	v_lshrrev_b32_e32 v31, 16, v1
	v_fmac_f16_e32 v33, 0.5, v3
	v_pk_fma_f16 v3, 0xbaee3aee, v11, v37 op_sel:[0,0,1] op_sel_hi:[1,1,0] neg_lo:[0,0,1] neg_hi:[0,0,1]
	v_lshrrev_b32_e32 v30, 16, v29
	v_bfi_b32 v32, 0xffff, v1, v9
	v_lshrrev_b32_e32 v35, 16, v9
	v_add_f16_e32 v38, v29, v25
	v_sub_f16_e32 v25, v29, v25
	v_add_f16_e32 v29, v9, v34
	v_sub_f16_e32 v11, v9, v34
	v_add_f16_e32 v9, v10, v19
	v_pk_add_f16 v4, v12, v6
	v_lshrrev_b32_e32 v10, 16, v6
	v_pack_b32_f16 v12, v19, v6
	v_add_f16_e32 v19, v31, v33
	v_lshrrev_b32_e32 v31, 16, v3
	v_pack_b32_f16 v33, v33, v3
	v_sub_f16_e32 v10, v30, v10
	v_pk_add_f16 v12, v18, v12 op_sel:[1,0] op_sel_hi:[0,1] neg_lo:[0,1] neg_hi:[0,1]
	v_pk_add_f16 v6, v32, v3
	v_sub_f16_e32 v18, v35, v31
	v_pk_add_f16 v30, v1, v33 op_sel:[1,0] op_sel_hi:[0,1] neg_lo:[0,1] neg_hi:[0,1]
	v_pack_b32_f16 v3, v38, v9
	v_alignbit_b32 v10, v10, v12, 16
	v_pack_b32_f16 v9, v25, v12
	v_pack_b32_f16 v1, v29, v19
	v_alignbit_b32 v12, v18, v30, 16
	v_pack_b32_f16 v11, v11, v30
	ds_store_2addr_b64 v42, v[2:3], v[4:5] offset1:1
	ds_store_b64 v42, v[9:10] offset:16
	ds_store_2addr_b64 v41, v[0:1], v[6:7] offset1:1
	ds_store_b64 v41, v[11:12] offset:16
	global_wb scope:SCOPE_SE
	s_wait_dscnt 0x0
	s_barrier_signal -1
	s_barrier_wait -1
	global_inv scope:SCOPE_SE
	s_clause 0x3
	global_load_b128 v[4:7], v[13:14], off
	global_load_b32 v129, v[13:14], off offset:16
	global_load_b128 v[0:3], v[15:16], off
	global_load_b32 v130, v[15:16], off offset:16
	v_add_co_u32 v29, null, 0x1e6, v64
	v_add_co_u32 v30, null, 0x2d9, v64
	v_mul_lo_u16 v9, v26, 57
	s_delay_alu instid0(VALU_DEP_3) | instskip(NEXT) | instid1(VALU_DEP_3)
	v_and_b32_e32 v19, 0xffff, v29
	v_and_b32_e32 v18, 0xffff, v30
	s_delay_alu instid0(VALU_DEP_3) | instskip(SKIP_1) | instid1(VALU_DEP_4)
	v_lshrrev_b16 v43, 11, v9
	v_mul_u32_u24_e32 v9, 0xe38f, v20
	v_mul_u32_u24_e32 v10, 0xe38f, v19
	s_delay_alu instid0(VALU_DEP_4)
	v_mul_u32_u24_e32 v11, 0xe38f, v18
	v_mul_u32_u24_e32 v19, 0x6523, v19
	v_mul_lo_u16 v12, v43, 36
	v_lshrrev_b32_e32 v44, 21, v9
	v_lshrrev_b32_e32 v45, 21, v10
	;; [unrolled: 1-line block ×3, first 2 shown]
	v_and_b32_e32 v9, 0xffff, v22
	v_sub_nc_u16 v10, v27, v12
	v_mul_lo_u16 v11, v44, 36
	v_mul_lo_u16 v12, v45, 36
	;; [unrolled: 1-line block ×3, first 2 shown]
	v_mul_u32_u24_e32 v9, 36, v9
	v_and_b32_e32 v47, 0xff, v10
	v_sub_nc_u16 v48, v28, v11
	v_sub_nc_u16 v49, v29, v12
	;; [unrolled: 1-line block ×3, first 2 shown]
	v_mad_u16 v10, v21, 36, v23
	v_add_lshl_u32 v127, v9, v24, 2
	v_lshlrev_b16 v9, 3, v48
	v_lshlrev_b16 v11, 3, v49
	v_lshlrev_b16 v12, 3, v50
	v_and_b32_e32 v10, 0xffff, v10
	v_lshlrev_b32_e32 v35, 3, v47
	v_and_b32_e32 v20, 0xffff, v9
	v_and_b32_e32 v31, 0xffff, v11
	;; [unrolled: 1-line block ×3, first 2 shown]
	v_lshlrev_b32_e32 v128, 2, v10
	ds_load_2addr_b32 v[9:10], v81 offset0:6 offset1:249
	ds_load_2addr_b32 v[11:12], v78 offset0:12 offset1:255
	;; [unrolled: 1-line block ×5, first 2 shown]
	ds_load_2addr_b32 v[24:25], v51 offset1:243
	v_add_co_u32 v20, s2, s10, v20
	s_wait_alu 0xf1ff
	v_add_co_ci_u32_e64 v21, null, s11, 0, s2
	v_add_co_u32 v31, s2, s10, v31
	s_wait_alu 0xf1ff
	v_add_co_ci_u32_e64 v32, null, s11, 0, s2
	v_add_co_u32 v33, s2, s10, v33
	s_wait_alu 0xf1ff
	v_add_co_ci_u32_e64 v34, null, s11, 0, s2
	global_wb scope:SCOPE_SE
	s_wait_loadcnt_dscnt 0x0
	s_barrier_signal -1
	s_barrier_wait -1
	v_lshrrev_b32_e32 v36, 16, v9
	v_lshrrev_b32_e32 v37, 16, v11
	;; [unrolled: 1-line block ×12, first 2 shown]
	global_inv scope:SCOPE_SE
	v_mul_u32_u24_e32 v18, 0x6523, v18
	s_delay_alu instid0(VALU_DEP_1)
	v_lshrrev_b32_e32 v18, 23, v18
	v_lshrrev_b32_e32 v140, 16, v4
	;; [unrolled: 1-line block ×11, first 2 shown]
	v_mul_f16_e64 v89, v36, v140
	v_mul_f16_e64 v90, v9, v140
	;; [unrolled: 1-line block ×19, first 2 shown]
	v_fma_f16 v9, v9, v4, -v89
	v_fma_f16 v11, v11, v5, -v91
	;; [unrolled: 1-line block ×4, first 2 shown]
	v_fmac_f16_e32 v90, v36, v4
	v_fmac_f16_e32 v92, v37, v5
	;; [unrolled: 1-line block ×4, first 2 shown]
	v_fmac_f16_e64 v105, v85, v129
	v_fma_f16 v22, v22, v129, -v106
	v_mul_f16_e64 v101, v84, v133
	v_fma_f16 v10, v10, v0, -v94
	v_fma_f16 v12, v12, v1, -v97
	;; [unrolled: 1-line block ×3, first 2 shown]
	v_fmac_f16_e32 v98, v40, v0
	v_fmac_f16_e32 v100, v82, v1
	;; [unrolled: 1-line block ×4, first 2 shown]
	v_fmac_f16_e64 v108, v86, v130
	v_fma_f16 v23, v23, v130, -v107
	v_add_f16_e32 v36, v24, v11
	v_add_f16_e32 v37, v11, v15
	;; [unrolled: 1-line block ×8, first 2 shown]
	v_fma_f16 v16, v16, v3, -v101
	v_sub_f16_e32 v38, v92, v103
	v_sub_f16_e32 v85, v95, v105
	v_add_f16_e32 v89, v25, v12
	v_add_f16_e32 v92, v88, v100
	v_sub_f16_e32 v93, v100, v104
	v_add_f16_e32 v94, v100, v104
	v_add_f16_e32 v95, v10, v14
	;; [unrolled: 1-line block ×5, first 2 shown]
	v_sub_f16_e32 v11, v11, v15
	v_sub_f16_e32 v13, v13, v22
	v_add_f16_e32 v15, v36, v15
	v_add_f16_e32 v36, v39, v103
	v_fmac_f16_e32 v87, -0.5, v40
	v_add_f16_e32 v22, v82, v22
	v_fmac_f16_e32 v9, -0.5, v83
	;; [unrolled: 2-line block ×3, first 2 shown]
	v_fma_f16 v24, -0.5, v37, v24
	v_add_f16_e32 v91, v12, v16
	v_sub_f16_e32 v12, v12, v16
	v_sub_f16_e32 v14, v14, v23
	v_add_f16_e32 v16, v89, v16
	v_add_f16_e32 v40, v92, v104
	v_add_f16_e32 v23, v95, v23
	v_add_f16_e32 v37, v97, v108
	v_fmac_f16_e32 v98, -0.5, v100
	v_sub_f16_e32 v99, v102, v108
	v_fmac_f16_e32 v88, -0.5, v94
	v_fmac_f16_e32 v10, -0.5, v96
	v_fmamk_f16 v82, v38, 0x3aee, v24
	v_fmac_f16_e32 v24, 0xbaee, v38
	v_fmamk_f16 v38, v11, 0xbaee, v87
	v_fmac_f16_e32 v87, 0x3aee, v11
	v_fmamk_f16 v11, v85, 0x3aee, v9
	v_fmamk_f16 v83, v13, 0xbaee, v90
	v_fmac_f16_e32 v90, 0x3aee, v13
	v_add_f16_e32 v13, v15, v22
	v_sub_f16_e32 v15, v15, v22
	v_add_f16_e32 v22, v36, v39
	v_sub_f16_e32 v36, v36, v39
	v_fmac_f16_e32 v9, 0xbaee, v85
	v_fmamk_f16 v85, v14, 0xbaee, v98
	v_fmac_f16_e32 v98, 0x3aee, v14
	v_add_f16_e32 v14, v16, v23
	v_sub_f16_e32 v16, v16, v23
	v_add_f16_e32 v23, v40, v37
	v_sub_f16_e32 v37, v40, v37
	v_fmamk_f16 v84, v12, 0xbaee, v88
	v_fmac_f16_e32 v88, 0x3aee, v12
	v_fmamk_f16 v12, v99, 0x3aee, v10
	v_fmac_f16_e32 v10, 0xbaee, v99
	v_pack_b32_f16 v13, v13, v22
	v_pack_b32_f16 v15, v15, v36
	v_mul_f16_e32 v22, 0x3aee, v83
	v_mul_f16_e32 v36, 0xbaee, v11
	v_pack_b32_f16 v14, v14, v23
	v_mul_f16_e32 v23, -0.5, v9
	v_pack_b32_f16 v16, v16, v37
	v_mul_f16_e32 v37, -0.5, v90
	v_fmac_f16_e32 v25, -0.5, v91
	v_mul_f16_e32 v40, 0x3aee, v85
	v_mul_f16_e32 v89, 0xbaee, v12
	v_mul_f16_e32 v86, -0.5, v10
	v_mul_f16_e32 v91, -0.5, v98
	v_fmac_f16_e32 v22, 0.5, v11
	v_fmac_f16_e32 v36, 0.5, v83
	v_fmac_f16_e32 v23, 0x3aee, v90
	v_fmac_f16_e32 v37, 0xbaee, v9
	v_fmamk_f16 v39, v93, 0x3aee, v25
	v_fmac_f16_e32 v40, 0.5, v12
	v_fmac_f16_e32 v89, 0.5, v85
	v_fmac_f16_e32 v25, 0xbaee, v93
	v_fmac_f16_e32 v86, 0x3aee, v98
	;; [unrolled: 1-line block ×3, first 2 shown]
	v_add_f16_e32 v9, v82, v22
	v_add_f16_e32 v11, v38, v36
	;; [unrolled: 1-line block ×3, first 2 shown]
	v_sub_f16_e32 v12, v82, v22
	v_add_f16_e32 v22, v87, v37
	v_sub_f16_e32 v23, v24, v23
	v_sub_f16_e32 v24, v38, v36
	;; [unrolled: 1-line block ×3, first 2 shown]
	v_add_f16_e32 v37, v39, v40
	v_add_f16_e32 v82, v84, v89
	;; [unrolled: 1-line block ×3, first 2 shown]
	v_sub_f16_e32 v39, v39, v40
	v_add_f16_e32 v40, v88, v91
	v_sub_f16_e32 v25, v25, v86
	v_sub_f16_e32 v83, v84, v89
	;; [unrolled: 1-line block ×3, first 2 shown]
	v_pack_b32_f16 v9, v9, v11
	v_pack_b32_f16 v10, v10, v22
	;; [unrolled: 1-line block ×8, first 2 shown]
	ds_store_2addr_b32 v127, v13, v9 offset1:6
	ds_store_2addr_b32 v127, v10, v15 offset0:12 offset1:18
	ds_store_2addr_b32 v127, v11, v12 offset0:24 offset1:30
	ds_store_2addr_b32 v128, v14, v22 offset1:6
	ds_store_2addr_b32 v128, v23, v16 offset0:12 offset1:18
	ds_store_2addr_b32 v128, v24, v25 offset0:24 offset1:30
	global_wb scope:SCOPE_SE
	s_wait_dscnt 0x0
	s_barrier_signal -1
	s_barrier_wait -1
	global_inv scope:SCOPE_SE
	s_clause 0x3
	global_load_b64 v[39:40], v35, s[10:11] offset:120
	global_load_b64 v[37:38], v[20:21], off offset:120
	global_load_b64 v[35:36], v[31:32], off offset:120
	;; [unrolled: 1-line block ×3, first 2 shown]
	v_mul_lo_u16 v9, v26, 19
	v_lshrrev_b16 v10, 2, v28
	v_lshrrev_b16 v11, 2, v29
	;; [unrolled: 1-line block ×3, first 2 shown]
	v_and_b32_e32 v13, 0xffff, v43
	v_lshrrev_b16 v82, 11, v9
	v_and_b32_e32 v9, 0xffff, v10
	v_and_b32_e32 v10, 0xffff, v11
	;; [unrolled: 1-line block ×3, first 2 shown]
	v_mul_u32_u24_e32 v13, 0x6c, v13
	v_mul_lo_u16 v12, 0x6c, v82
	v_mul_u32_u24_e32 v9, 0x4bdb, v9
	v_mul_u32_u24_e32 v10, 0x4bdb, v10
	;; [unrolled: 1-line block ×3, first 2 shown]
	v_add_lshl_u32 v115, v13, v47, 2
	v_sub_nc_u16 v12, v27, v12
	v_lshrrev_b32_e32 v20, 19, v9
	v_lshrrev_b32_e32 v21, 19, v10
	;; [unrolled: 1-line block ×3, first 2 shown]
	v_mad_u16 v13, 0x6c, v45, v49
	v_and_b32_e32 v23, 0xff, v12
	v_mul_lo_u16 v9, 0x6c, v20
	v_mul_lo_u16 v10, 0x6c, v21
	;; [unrolled: 1-line block ×3, first 2 shown]
	v_mad_u16 v12, 0x6c, v44, v48
	v_mad_u16 v14, 0x6c, v46, v50
	v_sub_nc_u16 v24, v28, v9
	v_sub_nc_u16 v31, v29, v10
	v_sub_nc_u16 v32, v30, v11
	v_and_b32_e32 v9, 0xffff, v12
	v_and_b32_e32 v10, 0xffff, v13
	;; [unrolled: 1-line block ×3, first 2 shown]
	v_lshlrev_b16 v12, 3, v24
	v_lshlrev_b16 v13, 3, v31
	v_lshlrev_b32_e32 v118, 2, v9
	v_lshlrev_b32_e32 v116, 2, v10
	;; [unrolled: 1-line block ×3, first 2 shown]
	v_and_b32_e32 v15, 0xffff, v12
	ds_load_2addr_b32 v[9:10], v78 offset0:12 offset1:255
	ds_load_2addr_b32 v[11:12], v79 offset0:8 offset1:251
	v_and_b32_e32 v47, 0xffff, v13
	v_lshlrev_b16 v14, 3, v32
	v_lshlrev_b32_e32 v83, 3, v23
	v_add_co_u32 v13, s2, s10, v15
	ds_load_2addr_b32 v[15:16], v51 offset1:243
	ds_load_2addr_b32 v[25:26], v80 offset0:2 offset1:245
	ds_load_2addr_b32 v[43:44], v77 offset0:6 offset1:249
	;; [unrolled: 1-line block ×3, first 2 shown]
	v_and_b32_e32 v49, 0xffff, v14
	s_wait_alu 0xf1ff
	v_add_co_ci_u32_e64 v14, null, s11, 0, s2
	v_add_co_u32 v47, s2, s10, v47
	s_wait_alu 0xf1ff
	v_add_co_ci_u32_e64 v48, null, s11, 0, s2
	v_add_co_u32 v49, s2, s10, v49
	s_wait_alu 0xf1ff
	v_add_co_ci_u32_e64 v50, null, s11, 0, s2
	global_wb scope:SCOPE_SE
	s_wait_loadcnt_dscnt 0x0
	v_lshrrev_b32_e32 v84, 16, v9
	v_lshrrev_b32_e32 v85, 16, v10
	;; [unrolled: 1-line block ×12, first 2 shown]
	s_barrier_signal -1
	s_barrier_wait -1
	global_inv scope:SCOPE_SE
	v_mad_u16 v20, 0x144, v20, v24
	v_mad_u16 v21, 0x144, v21, v31
	;; [unrolled: 1-line block ×3, first 2 shown]
	v_lshrrev_b32_e32 v125, 16, v39
	v_lshrrev_b32_e32 v123, 16, v37
	;; [unrolled: 1-line block ×8, first 2 shown]
	v_mul_f16_e32 v96, v84, v125
	v_mul_f16_e32 v97, v85, v123
	;; [unrolled: 1-line block ×16, first 2 shown]
	v_fma_f16 v9, v9, v39, -v96
	v_fma_f16 v10, v10, v37, -v97
	v_fma_f16 v11, v11, v40, -v100
	v_fma_f16 v12, v12, v38, -v101
	v_fmac_f16_e32 v99, v85, v37
	v_fmac_f16_e32 v102, v87, v38
	;; [unrolled: 1-line block ×4, first 2 shown]
	v_fma_f16 v25, v25, v35, -v104
	v_fma_f16 v26, v26, v33, -v105
	;; [unrolled: 1-line block ×4, first 2 shown]
	v_fmac_f16_e32 v106, v90, v35
	v_fmac_f16_e32 v110, v92, v36
	;; [unrolled: 1-line block ×4, first 2 shown]
	v_add_f16_e32 v84, v10, v12
	v_add_f16_e32 v86, v99, v102
	;; [unrolled: 1-line block ×8, first 2 shown]
	v_sub_f16_e32 v97, v98, v103
	v_add_f16_e32 v98, v26, v44
	v_add_f16_e32 v100, v107, v111
	;; [unrolled: 1-line block ×3, first 2 shown]
	v_sub_f16_e32 v104, v107, v111
	v_add_f16_e32 v105, v25, v43
	v_add_f16_e32 v107, v45, v25
	;; [unrolled: 1-line block ×4, first 2 shown]
	v_sub_f16_e32 v90, v99, v102
	v_sub_f16_e32 v10, v10, v12
	;; [unrolled: 1-line block ×3, first 2 shown]
	v_fmac_f16_e32 v16, -0.5, v84
	v_fmac_f16_e32 v88, -0.5, v86
	v_add_f16_e32 v11, v92, v11
	v_add_f16_e32 v84, v93, v103
	v_fmac_f16_e32 v89, -0.5, v96
	v_fma_f16 v15, -0.5, v91, v15
	v_add_f16_e32 v99, v46, v26
	v_sub_f16_e32 v26, v26, v44
	v_sub_f16_e32 v106, v106, v110
	;; [unrolled: 1-line block ×3, first 2 shown]
	v_add_f16_e32 v12, v85, v12
	v_add_f16_e32 v85, v87, v102
	v_fmac_f16_e32 v46, -0.5, v98
	v_fmac_f16_e32 v94, -0.5, v100
	v_fma_f16 v45, -0.5, v105, v45
	v_add_f16_e32 v86, v108, v110
	v_add_f16_e32 v43, v107, v43
	v_fmac_f16_e32 v95, -0.5, v109
	v_fmamk_f16 v91, v90, 0x3aee, v16
	v_fmac_f16_e32 v16, 0xbaee, v90
	v_fmamk_f16 v90, v10, 0xbaee, v88
	v_fmac_f16_e32 v88, 0x3aee, v10
	v_pack_b32_f16 v10, v11, v84
	v_fmamk_f16 v11, v97, 0x3aee, v15
	v_fmamk_f16 v84, v9, 0xbaee, v89
	v_fmac_f16_e32 v15, 0xbaee, v97
	v_fmac_f16_e32 v89, 0x3aee, v9
	v_add_f16_e32 v44, v99, v44
	v_add_f16_e32 v87, v101, v111
	v_pack_b32_f16 v9, v12, v85
	v_fmamk_f16 v12, v104, 0x3aee, v46
	v_fmamk_f16 v85, v26, 0xbaee, v94
	v_fmac_f16_e32 v94, 0x3aee, v26
	v_pack_b32_f16 v26, v43, v86
	v_fmamk_f16 v43, v106, 0x3aee, v45
	v_fmamk_f16 v86, v25, 0xbaee, v95
	v_fmac_f16_e32 v46, 0xbaee, v104
	v_fmac_f16_e32 v45, 0xbaee, v106
	;; [unrolled: 1-line block ×3, first 2 shown]
	v_pack_b32_f16 v11, v11, v84
	v_pack_b32_f16 v15, v15, v89
	;; [unrolled: 1-line block ×9, first 2 shown]
	ds_store_2addr_b32 v115, v10, v11 offset1:36
	ds_store_b32 v115, v15 offset:288
	ds_store_2addr_b32 v118, v9, v44 offset1:36
	ds_store_b32 v118, v16 offset:288
	;; [unrolled: 2-line block ×4, first 2 shown]
	global_wb scope:SCOPE_SE
	s_wait_dscnt 0x0
	s_barrier_signal -1
	s_barrier_wait -1
	global_inv scope:SCOPE_SE
	s_clause 0x3
	global_load_b64 v[15:16], v83, s[10:11] offset:408
	global_load_b64 v[13:14], v[13:14], off offset:408
	global_load_b64 v[11:12], v[47:48], off offset:408
	;; [unrolled: 1-line block ×3, first 2 shown]
	v_lshrrev_b32_e32 v94, 23, v19
	v_and_b32_e32 v19, 0xffff, v82
	v_mul_lo_u16 v44, 0x144, v18
	v_add_co_u32 v25, s2, 0xffffffaf, v64
	s_delay_alu instid0(VALU_DEP_4) | instskip(NEXT) | instid1(VALU_DEP_4)
	v_mul_lo_u16 v43, 0x144, v94
	v_mul_u32_u24_e32 v19, 0x144, v19
	s_delay_alu instid0(VALU_DEP_4)
	v_sub_nc_u16 v96, v30, v44
	s_wait_alu 0xf1ff
	v_add_co_ci_u32_e64 v26, null, 0, -1, s2
	v_sub_nc_u16 v95, v29, v43
	v_add_lshl_u32 v82, v19, v23, 2
	v_lshlrev_b16 v23, 3, v96
	s_wait_alu 0xfffd
	v_dual_cndmask_b32 v26, v26, v17 :: v_dual_and_b32 v83, 0xffff, v20
	v_lshlrev_b16 v19, 3, v95
	v_and_b32_e32 v84, 0xffff, v21
	v_and_b32_e32 v49, 0xffff, v23
	;; [unrolled: 1-line block ×3, first 2 shown]
	v_lshlrev_b32_e32 v85, 2, v83
	v_and_b32_e32 v43, 0xffff, v19
	ds_load_2addr_b32 v[19:20], v78 offset0:12 offset1:255
	ds_load_2addr_b32 v[21:22], v79 offset0:8 offset1:251
	ds_load_2addr_b32 v[23:24], v51 offset1:243
	ds_load_2addr_b32 v[31:32], v80 offset0:2 offset1:245
	ds_load_2addr_b32 v[45:46], v77 offset0:6 offset1:249
	;; [unrolled: 1-line block ×3, first 2 shown]
	v_lshlrev_b32_e32 v83, 2, v86
	v_cndmask_b32_e32 v25, v25, v28, vcc_lo
	v_add_co_u32 v43, s2, s10, v43
	s_wait_alu 0xf1ff
	v_add_co_ci_u32_e64 v44, null, s11, 0, s2
	s_delay_alu instid0(VALU_DEP_3) | instskip(SKIP_4) | instid1(VALU_DEP_4)
	v_lshlrev_b64_e32 v[17:18], 3, v[25:26]
	v_lshlrev_b32_e32 v26, 3, v64
	v_add_co_u32 v49, s2, s10, v49
	s_wait_alu 0xf1ff
	v_add_co_ci_u32_e64 v50, null, s11, 0, s2
	v_add_co_u32 v17, vcc_lo, s10, v17
	s_wait_alu 0xfffd
	v_add_co_ci_u32_e32 v18, vcc_lo, s11, v18, vcc_lo
	s_wait_dscnt 0x5
	v_lshrrev_b32_e32 v97, 16, v19
	v_lshrrev_b32_e32 v98, 16, v20
	s_wait_dscnt 0x4
	v_lshrrev_b32_e32 v99, 16, v21
	v_lshrrev_b32_e32 v100, 16, v22
	;; [unrolled: 3-line block ×4, first 2 shown]
	v_lshrrev_b32_e32 v106, 16, v23
	v_lshrrev_b32_e32 v101, 16, v24
	s_wait_dscnt 0x0
	v_lshrrev_b32_e32 v108, 16, v47
	v_lshrrev_b32_e32 v107, 16, v48
	v_lshlrev_b32_e32 v84, 2, v84
	global_wb scope:SCOPE_SE
	s_wait_loadcnt 0x0
	s_barrier_signal -1
	s_barrier_wait -1
	global_inv scope:SCOPE_SE
	v_cmp_lt_u16_e32 vcc_lo, 0x50, v27
	s_add_nc_u64 s[2:3], s[8:9], 0x2d90
	v_lshrrev_b32_e32 v92, 16, v15
	v_lshrrev_b32_e32 v90, 16, v13
	;; [unrolled: 1-line block ×8, first 2 shown]
	v_mul_f16_e32 v109, v97, v92
	v_mul_f16_e32 v110, v98, v90
	;; [unrolled: 1-line block ×6, first 2 shown]
	v_mul_f16_e64 v141, v22, v91
	v_mul_f16_e64 v144, v21, v93
	;; [unrolled: 1-line block ×10, first 2 shown]
	v_fma_f16 v19, v19, v15, -v109
	v_fma_f16 v20, v20, v13, -v110
	;; [unrolled: 1-line block ×4, first 2 shown]
	v_fmac_f16_e32 v112, v98, v13
	v_fmac_f16_e64 v141, v100, v14
	v_fmac_f16_e32 v111, v97, v15
	v_fmac_f16_e64 v144, v99, v16
	v_fma_f16 v31, v31, v11, -v142
	v_fma_f16 v32, v32, v9, -v143
	;; [unrolled: 1-line block ×4, first 2 shown]
	v_fmac_f16_e64 v145, v102, v11
	v_fmac_f16_e64 v149, v104, v12
	;; [unrolled: 1-line block ×4, first 2 shown]
	v_add_f16_e32 v97, v20, v22
	v_add_f16_e64 v99, v112, v141
	v_add_f16_e32 v102, v19, v21
	v_add_f16_e32 v103, v23, v19
	;; [unrolled: 1-line block ×3, first 2 shown]
	v_add_f16_e64 v105, v111, v144
	v_add_f16_e32 v98, v24, v20
	v_add_f16_e32 v100, v101, v112
	;; [unrolled: 1-line block ×3, first 2 shown]
	v_add_f16_e64 v113, v146, v150
	v_add_f16_e64 v142, v108, v145
	;; [unrolled: 1-line block ×5, first 2 shown]
	v_sub_f16_e32 v19, v19, v21
	v_sub_f16_e64 v109, v111, v144
	v_sub_f16_e32 v20, v20, v22
	v_fmac_f16_e32 v24, -0.5, v97
	v_fmac_f16_e32 v101, -0.5, v99
	v_add_f16_e32 v21, v103, v21
	v_add_f16_e64 v97, v104, v144
	v_fmac_f16_e32 v106, -0.5, v105
	v_fma_f16 v23, -0.5, v102, v23
	v_sub_f16_e64 v111, v112, v141
	v_add_f16_e32 v112, v48, v32
	v_add_f16_e64 v114, v107, v146
	v_sub_f16_e64 v145, v145, v149
	v_sub_f16_e32 v31, v31, v45
	v_sub_f16_e32 v32, v32, v46
	v_sub_f16_e64 v146, v146, v150
	v_add_f16_e32 v22, v98, v22
	v_add_f16_e64 v98, v100, v141
	v_fmac_f16_e32 v48, -0.5, v110
	v_fmac_f16_e32 v107, -0.5, v113
	v_add_f16_e64 v99, v142, v149
	v_add_f16_e64 v45, v147, v45
	v_fmac_f16_e64 v108, -0.5, v143
	v_fma_f16 v47, -0.5, v148, v47
	v_fmamk_f16 v103, v20, 0xbaee, v101
	v_fmac_f16_e32 v101, 0x3aee, v20
	v_pack_b32_f16 v20, v21, v97
	v_fmamk_f16 v21, v109, 0x3aee, v23
	v_fmamk_f16 v97, v19, 0xbaee, v106
	v_fmac_f16_e32 v23, 0xbaee, v109
	v_fmac_f16_e32 v106, 0x3aee, v19
	v_add_f16_e32 v46, v112, v46
	v_add_f16_e64 v100, v114, v150
	v_fmamk_f16 v102, v111, 0x3aee, v24
	v_fmac_f16_e32 v24, 0xbaee, v111
	v_pack_b32_f16 v19, v22, v98
	v_fma_f16 v22, 0x3aee, v146, v48
	v_fmamk_f16 v98, v32, 0xbaee, v107
	v_fmac_f16_e32 v107, 0x3aee, v32
	v_pack_b32_f16 v32, v45, v99
	v_fma_f16 v45, 0x3aee, v145, v47
	v_fmamk_f16 v99, v31, 0xbaee, v108
	v_fmac_f16_e64 v48, 0xbaee, v146
	v_fmac_f16_e64 v47, 0xbaee, v145
	v_fmac_f16_e32 v108, 0x3aee, v31
	v_pack_b32_f16 v21, v21, v97
	v_pack_b32_f16 v23, v23, v106
	;; [unrolled: 1-line block ×9, first 2 shown]
	ds_store_2addr_b32 v82, v20, v21 offset1:108
	ds_store_b32 v82, v23 offset:864
	ds_store_2addr_b32 v85, v19, v46 offset1:108
	ds_store_b32 v85, v24 offset:864
	;; [unrolled: 2-line block ×4, first 2 shown]
	global_wb scope:SCOPE_SE
	s_wait_dscnt 0x0
	s_barrier_signal -1
	s_barrier_wait -1
	global_inv scope:SCOPE_SE
	s_clause 0x3
	global_load_b64 v[23:24], v26, s[10:11] offset:1272
	global_load_b64 v[21:22], v[17:18], off offset:1272
	global_load_b64 v[19:20], v[43:44], off offset:1272
	;; [unrolled: 1-line block ×3, first 2 shown]
	ds_load_2addr_b32 v[31:32], v78 offset0:12 offset1:255
	ds_load_2addr_b32 v[43:44], v79 offset0:8 offset1:251
	ds_load_2addr_b32 v[45:46], v80 offset0:2 offset1:245
	v_lshlrev_b32_e32 v98, 3, v28
	ds_load_2addr_b32 v[27:28], v77 offset0:6 offset1:249
	v_mad_u16 v49, 0x3cc, v94, v95
	ds_load_2addr_b32 v[47:48], v51 offset1:243
	s_wait_alu 0xfffd
	v_cndmask_b32_e64 v97, 0, 0x3cc, vcc_lo
	v_and_b32_e32 v94, 0xffff, v96
	v_lshlrev_b32_e32 v107, 3, v29
	v_and_b32_e32 v95, 0xffff, v49
	ds_load_2addr_b32 v[49:50], v81 offset0:6 offset1:249
	v_lshlrev_b32_e32 v108, 3, v30
	v_add_lshl_u32 v96, v25, v97, 2
	v_lshlrev_b32_e32 v94, 2, v94
	v_lshlrev_b32_e32 v95, 2, v95
	global_wb scope:SCOPE_SE
	s_wait_loadcnt_dscnt 0x0
	s_barrier_signal -1
	s_barrier_wait -1
	global_inv scope:SCOPE_SE
	v_lshrrev_b32_e32 v25, 16, v31
	v_lshrrev_b32_e32 v29, 16, v32
	;; [unrolled: 1-line block ×20, first 2 shown]
	v_mul_f16_e64 v143, v25, v105
	v_mul_f16_e64 v144, v29, v103
	;; [unrolled: 1-line block ×16, first 2 shown]
	v_fma_f16 v31, v31, v23, -v143
	v_fma_f16 v32, v32, v21, -v144
	;; [unrolled: 1-line block ×4, first 2 shown]
	v_fmac_f16_e64 v145, v25, v23
	v_fmac_f16_e64 v149, v30, v24
	;; [unrolled: 1-line block ×4, first 2 shown]
	v_fma_f16 v45, v45, v19, -v151
	v_fma_f16 v46, v46, v17, -v152
	;; [unrolled: 1-line block ×4, first 2 shown]
	v_fmac_f16_e64 v148, v29, v21
	v_fmac_f16_e64 v150, v97, v22
	v_fmac_f16_e64 v153, v109, v19
	v_fmac_f16_e64 v157, v111, v20
	v_add_f16_e32 v25, v32, v44
	v_add_f16_e32 v110, v31, v43
	v_add_f16_e64 v144, v154, v158
	v_add_f16_e64 v146, v141, v154
	v_sub_f16_e64 v147, v154, v158
	v_add_f16_e64 v154, v145, v149
	v_add_f16_e64 v30, v148, v150
	;; [unrolled: 1-line block ×3, first 2 shown]
	v_sub_f16_e64 v109, v148, v150
	v_add_f16_e32 v112, v46, v28
	v_add_f16_e64 v148, v45, v27
	v_add_f16_e64 v156, v153, v157
	v_add_f16_e32 v111, v47, v31
	v_add_f16_e64 v152, v114, v145
	v_add_f16_e32 v29, v48, v32
	v_add_f16_e64 v143, v50, v46
	v_sub_f16_e32 v46, v46, v28
	v_sub_f16_e32 v31, v31, v43
	v_sub_f16_e64 v145, v145, v149
	v_fmac_f16_e32 v48, -0.5, v25
	v_fma_f16 v25, -0.5, v110, v47
	v_fmac_f16_e64 v141, -0.5, v144
	v_fmac_f16_e64 v114, -0.5, v154
	v_sub_f16_e32 v32, v32, v44
	v_add_f16_e64 v151, v49, v45
	v_sub_f16_e32 v45, v45, v27
	v_add_f16_e64 v155, v142, v153
	v_sub_f16_e64 v153, v153, v157
	v_fmac_f16_e32 v113, -0.5, v30
	v_fmac_f16_e32 v50, -0.5, v112
	v_fma_f16 v30, -0.5, v148, v49
	v_fmac_f16_e64 v142, -0.5, v156
	v_add_f16_e32 v43, v111, v43
	v_add_f16_e64 v47, v152, v149
	v_fma_f16 v111, 0xbaee, v46, v141
	v_fmac_f16_e64 v141, 0x3aee, v46
	v_fma_f16 v46, 0x3aee, v145, v25
	v_fmamk_f16 v112, v31, 0xbaee, v114
	v_fmac_f16_e64 v25, 0xbaee, v145
	v_fmac_f16_e32 v114, 0x3aee, v31
	v_add_f16_e32 v29, v29, v44
	v_add_f16_e64 v44, v97, v150
	v_add_f16_e64 v27, v151, v27
	;; [unrolled: 1-line block ×5, first 2 shown]
	v_fmamk_f16 v110, v109, 0x3aee, v48
	v_fmac_f16_e32 v48, 0xbaee, v109
	v_fmamk_f16 v109, v32, 0xbaee, v113
	v_fmac_f16_e32 v113, 0x3aee, v32
	v_fma_f16 v32, 0x3aee, v147, v50
	v_fma_f16 v31, 0x3aee, v153, v30
	v_fmac_f16_e64 v30, 0xbaee, v153
	v_fma_f16 v143, 0xbaee, v45, v142
	v_fmac_f16_e64 v142, 0x3aee, v45
	v_fmac_f16_e64 v50, 0xbaee, v147
	v_pack_b32_f16 v43, v43, v47
	v_pack_b32_f16 v46, v46, v112
	;; [unrolled: 1-line block ×12, first 2 shown]
	ds_store_b32 v51, v43
	ds_store_b32 v51, v46 offset:1296
	ds_store_b32 v51, v25 offset:2592
	ds_store_b32 v96, v29
	ds_store_b32 v96, v47 offset:1296
	ds_store_b32 v96, v44 offset:2592
	;; [unrolled: 3-line block ×3, first 2 shown]
	ds_store_b32 v94, v28 offset:7776
	ds_store_b32 v94, v32 offset:9072
	;; [unrolled: 1-line block ×3, first 2 shown]
	global_wb scope:SCOPE_SE
	s_wait_dscnt 0x0
	s_barrier_signal -1
	s_barrier_wait -1
	global_inv scope:SCOPE_SE
	s_clause 0x3
	global_load_b64 v[29:30], v26, s[10:11] offset:3864
	global_load_b64 v[27:28], v98, s[10:11] offset:3864
	;; [unrolled: 1-line block ×4, first 2 shown]
	ds_load_2addr_b32 v[43:44], v78 offset0:12 offset1:255
	ds_load_2addr_b32 v[45:46], v79 offset0:8 offset1:251
	ds_load_2addr_b32 v[47:48], v51 offset1:243
	ds_load_2addr_b32 v[49:50], v80 offset0:2 offset1:245
	ds_load_2addr_b32 v[141:142], v77 offset0:6 offset1:249
	;; [unrolled: 1-line block ×3, first 2 shown]
	v_add_nc_u32_e32 v97, 0x12e0, v51
	v_add_nc_u32_e32 v98, 0x2200, v51
	s_wait_dscnt 0x5
	v_lshrrev_b32_e32 v145, 16, v43
	s_wait_dscnt 0x4
	v_lshrrev_b32_e32 v147, 16, v45
	v_lshrrev_b32_e32 v148, 16, v46
	;; [unrolled: 1-line block ×3, first 2 shown]
	s_wait_dscnt 0x2
	v_lshrrev_b32_e32 v151, 16, v49
	v_lshrrev_b32_e32 v152, 16, v50
	s_wait_dscnt 0x1
	v_lshrrev_b32_e32 v153, 16, v141
	v_lshrrev_b32_e32 v154, 16, v142
	v_lshrrev_b32_e32 v149, 16, v48
	v_lshrrev_b32_e32 v150, 16, v47
	s_wait_dscnt 0x0
	v_lshrrev_b32_e32 v155, 16, v144
	s_wait_loadcnt 0x3
	v_lshrrev_b32_e32 v114, 16, v30
	s_wait_loadcnt 0x2
	v_lshrrev_b32_e32 v112, 16, v28
	v_lshrrev_b32_e32 v113, 16, v29
	;; [unrolled: 1-line block ×3, first 2 shown]
	s_wait_loadcnt 0x1
	v_lshrrev_b32_e32 v109, 16, v25
	v_mul_f16_e64 v160, v147, v114
	v_mul_f16_e64 v161, v148, v112
	s_wait_loadcnt 0x0
	v_lshrrev_b32_e32 v107, 16, v31
	v_mul_f16_e64 v156, v145, v113
	v_mul_f16_e64 v157, v146, v111
	;; [unrolled: 1-line block ×4, first 2 shown]
	v_fma_f16 v45, v45, v30, -v160
	v_fma_f16 v160, v46, v28, -v161
	v_mul_f16_e32 v46, v46, v112
	v_lshrrev_b32_e32 v110, 16, v26
	v_lshrrev_b32_e32 v108, 16, v32
	v_mul_f16_e64 v158, v43, v113
	v_fma_f16 v43, v43, v29, -v156
	v_fma_f16 v44, v44, v27, -v157
	v_mul_f16_e64 v156, v151, v109
	v_mul_f16_e64 v157, v152, v107
	;; [unrolled: 1-line block ×3, first 2 shown]
	v_fmac_f16_e64 v159, v146, v27
	v_fmac_f16_e64 v46, v148, v28
	v_fma_f16 v49, v49, v25, -v156
	v_fma_f16 v156, v50, v31, -v157
	v_mul_f16_e32 v50, v50, v107
	v_fmac_f16_e64 v158, v145, v29
	v_mul_f16_e64 v145, v153, v110
	v_fmac_f16_e64 v162, v147, v30
	v_mul_f16_e64 v147, v154, v108
	v_mul_f16_e64 v146, v141, v110
	;; [unrolled: 1-line block ×3, first 2 shown]
	v_fmac_f16_e64 v161, v151, v25
	v_add_f16_e64 v151, v159, v46
	v_fma_f16 v141, v141, v26, -v145
	v_fma_f16 v142, v142, v32, -v147
	v_fmac_f16_e64 v146, v153, v26
	v_fmac_f16_e64 v50, v152, v31
	v_add_f16_e64 v145, v44, v160
	v_add_f16_e64 v152, v149, v159
	v_sub_f16_e64 v153, v159, v46
	v_add_f16_e64 v159, v47, v43
	v_fmac_f16_e64 v148, v154, v32
	v_fmac_f16_e64 v149, -0.5, v151
	v_add_f16_e64 v151, v150, v158
	v_add_f16_e64 v147, v48, v44
	v_add_f16_e64 v154, v43, v45
	v_sub_f16_e32 v43, v43, v45
	v_fmac_f16_e64 v48, -0.5, v145
	v_add_f16_e64 v145, v158, v162
	v_add_f16_e64 v45, v159, v45
	;; [unrolled: 1-line block ×3, first 2 shown]
	v_lshrrev_b32_e32 v157, 16, v143
	v_sub_f16_e64 v158, v158, v162
	v_add_f16_e64 v151, v151, v162
	v_add_f16_e64 v162, v50, v148
	;; [unrolled: 1-line block ×4, first 2 shown]
	v_fmac_f16_e64 v150, -0.5, v145
	v_add_f16_e64 v145, v144, v156
	v_fmac_f16_e64 v144, -0.5, v159
	v_add_f16_e64 v159, v49, v141
	v_sub_f16_e64 v44, v44, v160
	v_add_f16_e64 v147, v147, v160
	v_add_f16_e64 v160, v155, v50
	v_fmac_f16_e64 v155, -0.5, v162
	v_add_f16_e64 v162, v157, v161
	v_fmac_f16_e64 v157, -0.5, v152
	v_add_f16_e64 v152, v143, v49
	v_fma_f16 v47, -0.5, v154, v47
	v_sub_f16_e64 v50, v50, v148
	v_sub_f16_e64 v156, v156, v142
	;; [unrolled: 1-line block ×4, first 2 shown]
	v_fma_f16 v143, -0.5, v159, v143
	v_add_f16_e64 v141, v152, v141
	v_add_f16_e64 v142, v145, v142
	;; [unrolled: 1-line block ×3, first 2 shown]
	v_fma_f16 v148, 0x3aee, v153, v48
	v_fmac_f16_e64 v48, 0xbaee, v153
	v_fma_f16 v152, 0xbaee, v44, v149
	v_fmac_f16_e64 v149, 0x3aee, v44
	v_fma_f16 v44, 0x3aee, v158, v47
	v_fma_f16 v153, 0xbaee, v43, v150
	v_fmac_f16_e64 v47, 0xbaee, v158
	v_fmac_f16_e64 v150, 0x3aee, v43
	v_add_f16_e64 v146, v162, v146
	v_pack_b32_f16 v43, v45, v151
	v_pack_b32_f16 v45, v147, v46
	v_fma_f16 v46, 0x3aee, v50, v144
	v_fmac_f16_e64 v144, 0xbaee, v50
	v_fma_f16 v50, 0xbaee, v156, v155
	v_fmac_f16_e64 v155, 0x3aee, v156
	v_fma_f16 v147, 0x3aee, v161, v143
	v_fma_f16 v151, 0xbaee, v49, v157
	v_fmac_f16_e64 v143, 0xbaee, v161
	v_fmac_f16_e64 v157, 0x3aee, v49
	v_pack_b32_f16 v44, v44, v153
	v_pack_b32_f16 v47, v47, v150
	;; [unrolled: 1-line block ×10, first 2 shown]
	ds_store_b32 v51, v44 offset:3888
	ds_store_b32 v51, v47 offset:7776
	ds_store_2addr_b32 v51, v43, v45 offset1:243
	ds_store_2addr_b32 v97, v144, v145 offset0:7 offset1:250
	ds_store_2addr_b32 v98, v48, v143 offset0:11 offset1:254
	;; [unrolled: 1-line block ×3, first 2 shown]
	ds_store_b32 v51, v46 offset:6804
	ds_store_b32 v51, v142 offset:10692
	global_wb scope:SCOPE_SE
	s_wait_dscnt 0x0
	s_barrier_signal -1
	s_barrier_wait -1
	global_inv scope:SCOPE_SE
	s_clause 0xb
	global_load_b32 v45, v51, s[8:9] offset:11664
	global_load_b32 v141, v51, s[2:3] offset:972
	;; [unrolled: 1-line block ×12, first 2 shown]
	ds_load_2addr_b32 v[43:44], v51 offset1:243
	v_add_nc_u32_e32 v153, 0x3c0, v51
	s_mul_u64 s[2:3], s[4:5], 0x798
	s_wait_dscnt 0x0
	v_lshrrev_b32_e32 v47, 16, v43
	s_wait_loadcnt 0xa
	v_lshrrev_b32_e32 v152, 16, v141
	s_wait_loadcnt 0x9
	;; [unrolled: 2-line block ×7, first 2 shown]
	v_lshrrev_b32_e32 v162, 16, v147
	v_lshrrev_b32_e32 v46, 16, v45
	s_delay_alu instid0(VALU_DEP_1) | instskip(SKIP_1) | instid1(VALU_DEP_2)
	v_mul_f16_e32 v48, v43, v46
	v_mul_f16_e32 v46, v47, v46
	v_fmac_f16_e32 v48, v47, v45
	s_delay_alu instid0(VALU_DEP_2) | instskip(NEXT) | instid1(VALU_DEP_1)
	v_fma_f16 v43, v43, v45, -v46
	v_pack_b32_f16 v43, v43, v48
	ds_store_b32 v51, v43
	ds_load_2addr_b32 v[45:46], v81 offset0:6 offset1:249
	v_lshrrev_b32_e32 v43, 16, v44
	ds_load_2addr_b32 v[47:48], v78 offset0:12 offset1:255
	ds_load_2addr_b32 v[49:50], v80 offset0:2 offset1:245
	v_mul_f16_e64 v156, v43, v152
	v_mul_f16_e64 v152, v44, v152
	s_delay_alu instid0(VALU_DEP_2) | instskip(NEXT) | instid1(VALU_DEP_2)
	v_fma_f16 v156, v44, v141, -v156
	v_fmac_f16_e64 v152, v43, v141
	s_delay_alu instid0(VALU_DEP_1)
	v_pack_b32_f16 v152, v156, v152
	s_wait_dscnt 0x2
	v_lshrrev_b32_e32 v44, 16, v45
	v_lshrrev_b32_e32 v161, 16, v46
	v_mul_f16_e64 v160, v45, v154
	s_wait_dscnt 0x1
	v_lshrrev_b32_e32 v163, 16, v48
	v_mul_f16_e64 v141, v44, v154
	v_mul_f16_e64 v154, v161, v155
	v_fmac_f16_e64 v160, v44, v142
	ds_load_2addr_b32 v[43:44], v79 offset0:8 offset1:251
	v_mul_f16_e64 v155, v46, v155
	v_fma_f16 v141, v45, v142, -v141
	v_lshrrev_b32_e32 v45, 16, v47
	v_fma_f16 v142, v46, v143, -v154
	v_mul_f16_e64 v154, v47, v157
	s_wait_dscnt 0x1
	v_lshrrev_b32_e32 v46, 16, v50
	v_fmac_f16_e64 v155, v161, v143
	v_mul_f16_e64 v143, v50, v158
	v_mul_f16_e64 v157, v45, v157
	v_fmac_f16_e64 v154, v45, v144
	v_mul_f16_e64 v45, v46, v158
	v_lshrrev_b32_e32 v161, 16, v49
	v_fmac_f16_e64 v143, v46, v145
	v_mul_f16_e64 v158, v49, v159
	v_fma_f16 v47, v47, v144, -v157
	v_fma_f16 v50, v50, v145, -v45
	ds_load_2addr_b32 v[45:46], v77 offset0:6 offset1:249
	v_mul_f16_e64 v159, v161, v159
	v_fmac_f16_e64 v158, v161, v146
	s_wait_dscnt 0x1
	v_lshrrev_b32_e32 v144, 16, v43
	v_mul_f16_e64 v157, v48, v162
	s_wait_loadcnt 0x2
	v_lshrrev_b32_e32 v161, 16, v149
	v_fma_f16 v49, v49, v146, -v159
	v_mul_f16_e64 v146, v163, v162
	v_lshrrev_b32_e32 v159, 16, v148
	v_lshrrev_b32_e32 v156, 16, v44
	v_fmac_f16_e64 v157, v163, v147
	s_wait_loadcnt 0x0
	v_lshrrev_b32_e32 v162, 16, v151
	v_fma_f16 v48, v48, v147, -v146
	v_mul_f16_e64 v146, v43, v159
	v_mul_f16_e64 v159, v144, v159
	;; [unrolled: 1-line block ×4, first 2 shown]
	v_pack_b32_f16 v141, v141, v160
	v_fmac_f16_e64 v146, v144, v148
	v_lshrrev_b32_e32 v144, 16, v150
	v_fma_f16 v43, v43, v148, -v159
	s_wait_dscnt 0x0
	v_lshrrev_b32_e32 v148, 16, v45
	v_fma_f16 v44, v44, v149, -v147
	v_lshrrev_b32_e32 v147, 16, v46
	v_mul_f16_e64 v159, v45, v144
	v_fmac_f16_e64 v161, v156, v149
	v_mul_f16_e64 v149, v46, v162
	v_mul_f16_e64 v144, v148, v144
	;; [unrolled: 1-line block ×3, first 2 shown]
	v_fmac_f16_e64 v159, v148, v150
	v_add_nc_u32_e32 v145, 0xb40, v51
	v_fmac_f16_e64 v149, v147, v151
	v_fma_f16 v45, v45, v150, -v144
	v_fma_f16 v46, v46, v151, -v156
	v_pack_b32_f16 v47, v47, v154
	v_pack_b32_f16 v142, v142, v155
	v_add_nc_u32_e32 v162, 0x1a80, v51
	v_pack_b32_f16 v43, v43, v146
	v_pack_b32_f16 v50, v50, v143
	;; [unrolled: 1-line block ×7, first 2 shown]
	ds_store_2addr_b32 v153, v152, v141 offset0:3 offset1:246
	ds_store_2addr_b32 v145, v142, v47 offset0:9 offset1:252
	;; [unrolled: 1-line block ×5, first 2 shown]
	ds_store_b32 v51, v46 offset:10692
	global_wb scope:SCOPE_SE
	s_wait_dscnt 0x0
	s_barrier_signal -1
	s_barrier_wait -1
	global_inv scope:SCOPE_SE
	ds_load_2addr_b32 v[43:44], v80 offset0:2 offset1:245
	ds_load_2addr_b32 v[45:46], v77 offset0:6 offset1:249
	;; [unrolled: 1-line block ×4, first 2 shown]
	ds_load_2addr_b32 v[141:142], v51 offset1:243
	ds_load_2addr_b32 v[143:144], v81 offset0:6 offset1:249
	global_wb scope:SCOPE_SE
	s_wait_dscnt 0x0
	s_barrier_signal -1
	s_barrier_wait -1
	global_inv scope:SCOPE_SE
	v_pk_add_f16 v145, v43, v45
	v_pk_add_f16 v146, v43, v45 neg_lo:[0,1] neg_hi:[0,1]
	v_pk_add_f16 v147, v47, v49
	v_pk_add_f16 v148, v47, v49 neg_lo:[0,1] neg_hi:[0,1]
	v_pk_add_f16 v47, v141, v47
	v_pk_add_f16 v43, v143, v43
	;; [unrolled: 1-line block ×6, first 2 shown]
	v_pk_add_f16 v153, v44, v46 neg_lo:[0,1] neg_hi:[0,1]
	v_pk_fma_f16 v44, v145, 0.5, v143 op_sel_hi:[1,0,1] neg_lo:[1,0,0] neg_hi:[1,0,0]
	v_pk_add_f16 v48, v48, v50 neg_lo:[0,1] neg_hi:[0,1]
	v_pk_add_f16 v47, v47, v49
	v_pk_add_f16 v43, v43, v45
	;; [unrolled: 1-line block ×3, first 2 shown]
	v_pk_fma_f16 v50, v150, 0.5, v142 op_sel_hi:[1,0,1] neg_lo:[1,0,0] neg_hi:[1,0,0]
	v_pk_fma_f16 v142, v151, 0.5, v144 op_sel_hi:[1,0,1] neg_lo:[1,0,0] neg_hi:[1,0,0]
	;; [unrolled: 1-line block ×3, first 2 shown]
	v_pk_add_f16 v46, v152, v46
	v_pk_fma_f16 v143, 0x3aee, v146, v44 op_sel:[0,0,1] op_sel_hi:[0,1,0]
	v_pk_fma_f16 v144, 0x3aee, v146, v44 op_sel:[0,0,1] op_sel_hi:[0,1,0] neg_lo:[0,1,0] neg_hi:[0,1,0]
	v_pk_add_f16 v44, v47, v43 neg_lo:[0,1] neg_hi:[0,1]
	v_pk_add_f16 v45, v47, v43
	v_pk_fma_f16 v43, 0x3aee, v153, v142 op_sel:[0,0,1] op_sel_hi:[0,1,0] neg_lo:[0,1,0] neg_hi:[0,1,0]
	v_pk_fma_f16 v145, 0x3aee, v148, v141 op_sel:[0,0,1] op_sel_hi:[0,1,0] neg_lo:[0,1,0] neg_hi:[0,1,0]
	v_pk_fma_f16 v47, 0x3aee, v153, v142 op_sel:[0,0,1] op_sel_hi:[0,1,0]
	v_pk_fma_f16 v142, 0x3aee, v48, v50 op_sel:[0,0,1] op_sel_hi:[0,1,0] neg_lo:[0,1,0] neg_hi:[0,1,0]
	v_pk_fma_f16 v50, 0x3aee, v48, v50 op_sel:[0,0,1] op_sel_hi:[0,1,0]
	v_pk_add_f16 v48, v49, v46 neg_lo:[0,1] neg_hi:[0,1]
	v_pk_add_f16 v49, v49, v46
	v_lshrrev_b32_e32 v46, 16, v144
	v_mul_f16_e64 v146, 0xbaee, v143
	v_pk_mul_f16 v147, 0x3aee, v144 op_sel_hi:[0,1]
	v_pk_mul_f16 v154, 0x3aee, v43 op_sel_hi:[0,1]
	v_pk_fma_f16 v141, 0x3aee, v148, v141 op_sel:[0,0,1] op_sel_hi:[0,1,0]
	v_lshrrev_b32_e32 v148, 16, v143
	v_mul_f16_e64 v144, -0.5, v144
	v_lshrrev_b32_e32 v149, 16, v145
	v_lshrrev_b32_e32 v152, 16, v43
	v_mul_f16_e64 v153, 0xbaee, v47
	v_lshrrev_b32_e32 v155, 16, v47
	v_mul_f16_e32 v43, -0.5, v43
	v_fmac_f16_e64 v146, 0.5, v46
	v_pk_fma_f16 v46, 0xb8003800, v143, v147 op_sel:[0,0,1] op_sel_hi:[1,1,0]
	v_pk_fma_f16 v143, 0xb8003800, v143, v147 op_sel:[0,0,1] op_sel_hi:[1,1,0] neg_lo:[0,0,1] neg_hi:[0,0,1]
	v_pk_fma_f16 v147, 0xb8003800, v47, v154 op_sel:[0,0,1] op_sel_hi:[1,1,0]
	v_pk_fma_f16 v47, 0xb8003800, v47, v154 op_sel:[0,0,1] op_sel_hi:[1,1,0] neg_lo:[0,0,1] neg_hi:[0,0,1]
	v_lshrrev_b32_e32 v156, 16, v142
	v_fmac_f16_e64 v144, 0x3aee, v148
	v_fmac_f16_e64 v153, 0.5, v152
	v_fmac_f16_e64 v43, 0x3aee, v155
	v_add_f16_e64 v148, v149, v146
	v_bfi_b32 v149, 0xffff, v46, v143
	v_pack_b32_f16 v46, v146, v46
	v_bfi_b32 v146, 0xffff, v147, v47
	v_alignbit_b32 v150, v141, v145, 16
	v_alignbit_b32 v151, v145, v141, 16
	v_add_f16_e64 v145, v145, v144
	v_alignbit_b32 v143, v144, v143, 16
	v_add_f16_e64 v144, v156, v153
	v_pack_b32_f16 v147, v153, v147
	v_alignbit_b32 v153, v43, v47, 16
	v_pk_add_f16 v47, v141, v149
	v_alignbit_b32 v157, v50, v142, 16
	v_alignbit_b32 v158, v142, v50, 16
	v_add_f16_e64 v152, v142, v43
	v_pk_add_f16 v50, v50, v146
	v_pk_add_f16 v141, v150, v46 neg_lo:[0,1] neg_hi:[0,1]
	v_alignbit_b32 v43, v145, v47, 16
	v_pack_b32_f16 v46, v148, v47
	v_pk_add_f16 v142, v151, v143 neg_lo:[0,1] neg_hi:[0,1]
	v_alignbit_b32 v47, v152, v50, 16
	v_pack_b32_f16 v50, v144, v50
	v_pk_add_f16 v143, v157, v147 neg_lo:[0,1] neg_hi:[0,1]
	v_pk_add_f16 v144, v158, v153 neg_lo:[0,1] neg_hi:[0,1]
	ds_store_2addr_b64 v42, v[45:46], v[43:44] offset1:1
	ds_store_b64 v42, v[141:142] offset:16
	ds_store_2addr_b64 v41, v[49:50], v[47:48] offset1:1
	ds_store_b64 v41, v[143:144] offset:16
	global_wb scope:SCOPE_SE
	s_wait_dscnt 0x0
	s_barrier_signal -1
	s_barrier_wait -1
	global_inv scope:SCOPE_SE
	ds_load_2addr_b32 v[43:44], v81 offset0:6 offset1:249
	ds_load_2addr_b32 v[45:46], v78 offset0:12 offset1:255
	;; [unrolled: 1-line block ×5, first 2 shown]
	ds_load_2addr_b32 v[145:146], v51 offset1:243
	global_wb scope:SCOPE_SE
	s_wait_dscnt 0x0
	s_barrier_signal -1
	s_barrier_wait -1
	global_inv scope:SCOPE_SE
	v_mad_co_u64_u32 v[49:50], null, s6, v8, 0
	v_mad_co_u64_u32 v[41:42], null, s4, v64, 0
	v_lshrrev_b32_e32 v147, 16, v43
	v_mul_f16_e64 v148, v140, v43
	v_lshrrev_b32_e32 v149, 16, v45
	v_mul_f16_e64 v150, v139, v45
	;; [unrolled: 2-line block ×7, first 2 shown]
	v_mul_f16_e64 v140, v140, v147
	v_fma_f16 v147, v4, v147, -v148
	v_lshrrev_b32_e32 v148, 16, v142
	v_mul_f16_e64 v139, v139, v149
	v_fma_f16 v149, v5, v149, -v150
	v_mul_f16_e64 v150, v133, v142
	v_mul_f16_e64 v138, v138, v151
	v_fma_f16 v151, v6, v151, -v152
	v_lshrrev_b32_e32 v152, 16, v143
	v_mul_f16_e64 v137, v137, v153
	v_fma_f16 v153, v7, v153, -v154
	v_mul_f16_e64 v154, v131, v143
	;; [unrolled: 6-line block ×4, first 2 shown]
	v_fma_f16 v152, v129, v152, -v154
	v_mul_f16_e64 v132, v132, v156
	v_fma_f16 v154, v130, v156, -v158
	v_lshrrev_b32_e32 v150, 16, v146
	v_fmac_f16_e64 v140, v4, v43
	v_fmac_f16_e64 v139, v5, v45
	;; [unrolled: 1-line block ×10, first 2 shown]
	v_add_f16_e64 v0, v160, v149
	v_add_f16_e64 v1, v149, v153
	v_add_f16_e64 v3, v147, v151
	v_add_f16_e64 v4, v151, v152
	v_add_f16_e64 v6, v159, v154
	v_add_f16_e64 v46, v157, v148
	v_add_f16_e64 v7, v155, v159
	v_add_f16_e64 v45, v150, v157
	v_add_f16_e64 v0, v0, v153
	v_fmac_f16_e64 v160, -0.5, v1
	v_add_f16_e64 v1, v3, v152
	v_fmac_f16_e64 v147, -0.5, v4
	v_fmac_f16_e64 v155, -0.5, v6
	v_add_f16_e64 v3, v135, v133
	v_add_f16_e64 v4, v146, v135
	;; [unrolled: 1-line block ×4, first 2 shown]
	v_sub_f16_e64 v48, v134, v132
	v_add_f16_e64 v129, v139, v137
	v_add_f16_e64 v130, v145, v139
	v_fmac_f16_e64 v150, -0.5, v46
	v_sub_f16_e64 v46, v139, v137
	v_add_f16_e64 v134, v140, v138
	v_add_f16_e64 v139, v138, v131
	v_sub_f16_e64 v138, v138, v131
	v_sub_f16_e64 v2, v149, v153
	;; [unrolled: 1-line block ×5, first 2 shown]
	v_add_f16_e64 v45, v45, v148
	v_add_f16_e64 v7, v7, v154
	v_fmac_f16_e64 v146, -0.5, v3
	v_fmac_f16_e64 v136, -0.5, v6
	v_fma_f16 v3, 0x3aee, v48, v155
	v_fmac_f16_e64 v155, 0xbaee, v48
	v_fma_f16 v6, -0.5, v129, v145
	v_add_f16_e64 v48, v130, v137
	v_add_f16_e64 v129, v134, v131
	v_fmac_f16_e64 v140, -0.5, v139
	v_fma_f16 v130, 0x3aee, v46, v160
	v_fmac_f16_e64 v160, 0xbaee, v46
	v_fma_f16 v46, 0x3aee, v138, v147
	v_add_f16_e64 v131, v0, v1
	v_sub_f16_e32 v0, v0, v1
	v_add_f16_e64 v1, v4, v133
	v_add_f16_e64 v4, v47, v132
	v_sub_f16_e64 v135, v135, v133
	v_fmac_f16_e64 v147, 0xbaee, v138
	v_add_f16_e64 v132, v45, v7
	v_sub_f16_e32 v7, v45, v7
	v_fma_f16 v45, 0xbaee, v43, v146
	v_fmac_f16_e64 v146, 0x3aee, v43
	v_fma_f16 v43, 0xbaee, v44, v136
	v_fmac_f16_e64 v136, 0x3aee, v44
	v_mul_f16_e64 v44, 0xbaee, v155
	v_fma_f16 v133, 0xbaee, v2, v6
	v_fmac_f16_e32 v6, 0x3aee, v2
	v_fma_f16 v2, 0xbaee, v5, v140
	v_fmac_f16_e64 v140, 0x3aee, v5
	v_add_f16_e64 v5, v48, v129
	v_sub_f16_e64 v48, v48, v129
	v_add_f16_e64 v129, v1, v4
	v_sub_f16_e32 v1, v1, v4
	v_mul_f16_e32 v4, 0xbaee, v46
	v_mul_f16_e32 v46, 0.5, v46
	v_fma_f16 v47, 0x3aee, v135, v150
	v_fmac_f16_e64 v150, 0xbaee, v135
	v_mul_f16_e64 v134, 0xbaee, v147
	v_mul_f16_e64 v135, -0.5, v147
	v_mul_f16_e64 v137, 0xbaee, v3
	v_mul_f16_e32 v3, 0.5, v3
	v_mul_f16_e64 v138, -0.5, v155
	v_fmac_f16_e64 v44, -0.5, v136
	v_fmac_f16_e32 v4, 0.5, v2
	v_fmac_f16_e32 v46, 0x3aee, v2
	v_fmac_f16_e64 v134, -0.5, v140
	v_fmac_f16_e64 v135, 0x3aee, v140
	v_fmac_f16_e64 v137, 0.5, v43
	v_fmac_f16_e32 v3, 0x3aee, v43
	v_fmac_f16_e64 v138, 0x3aee, v136
	v_pack_b32_f16 v2, v5, v131
	v_pack_b32_f16 v5, v129, v132
	;; [unrolled: 1-line block ×3, first 2 shown]
	v_add_f16_e64 v7, v146, v44
	v_sub_f16_e64 v43, v146, v44
	v_add_f16_e64 v44, v133, v4
	v_add_f16_e64 v129, v130, v46
	v_pack_b32_f16 v0, v48, v0
	v_add_f16_e64 v48, v6, v134
	v_sub_f16_e64 v46, v130, v46
	v_add_f16_e64 v130, v160, v135
	v_sub_f16_e64 v4, v133, v4
	v_sub_f16_e64 v6, v6, v134
	;; [unrolled: 1-line block ×3, first 2 shown]
	v_add_f16_e64 v132, v45, v137
	v_add_f16_e64 v133, v47, v3
	v_sub_f16_e64 v45, v45, v137
	v_sub_f16_e32 v3, v47, v3
	v_add_f16_e64 v47, v150, v138
	v_sub_f16_e64 v134, v150, v138
	v_pack_b32_f16 v44, v44, v129
	v_pack_b32_f16 v48, v48, v130
	;; [unrolled: 1-line block ×8, first 2 shown]
	ds_store_2addr_b32 v127, v2, v44 offset1:6
	ds_store_2addr_b32 v127, v48, v0 offset0:12 offset1:18
	ds_store_2addr_b32 v127, v4, v6 offset0:24 offset1:30
	ds_store_2addr_b32 v128, v5, v46 offset1:6
	ds_store_2addr_b32 v128, v7, v1 offset0:12 offset1:18
	ds_store_2addr_b32 v128, v3, v43 offset0:24 offset1:30
	global_wb scope:SCOPE_SE
	s_wait_dscnt 0x0
	s_barrier_signal -1
	s_barrier_wait -1
	global_inv scope:SCOPE_SE
	ds_load_2addr_b32 v[0:1], v78 offset0:12 offset1:255
	ds_load_2addr_b32 v[2:3], v79 offset0:8 offset1:251
	;; [unrolled: 1-line block ×3, first 2 shown]
	v_mad_co_u64_u32 v[4:5], null, s7, v8, v[50:51]
	v_mov_b32_e32 v5, v42
	ds_load_2addr_b32 v[42:43], v77 offset0:6 offset1:249
	v_mov_b32_e32 v50, v4
	s_wait_dscnt 0x3
	v_lshrrev_b32_e32 v8, 16, v0
	v_mul_f16_e32 v47, v125, v0
	s_wait_dscnt 0x1
	v_mad_co_u64_u32 v[44:45], null, s5, v64, v[5:6]
	ds_load_2addr_b32 v[4:5], v51 offset1:243
	ds_load_2addr_b32 v[45:46], v81 offset0:6 offset1:249
	v_lshrrev_b32_e32 v48, 16, v2
	v_mul_f16_e32 v64, v126, v2
	v_lshrrev_b32_e32 v127, 16, v1
	v_mul_f16_e64 v128, v123, v1
	v_lshrrev_b32_e32 v129, 16, v3
	v_mul_f16_e64 v130, v124, v3
	v_lshrrev_b32_e32 v131, 16, v6
	s_wait_dscnt 0x2
	v_lshrrev_b32_e32 v133, 16, v42
	v_lshrrev_b32_e32 v135, 16, v7
	v_mul_f16_e64 v136, v119, v7
	v_lshrrev_b32_e32 v137, 16, v43
	v_mul_f16_e64 v138, v120, v43
	v_mul_f16_e64 v132, v121, v6
	;; [unrolled: 1-line block ×3, first 2 shown]
	v_mul_f16_e32 v125, v125, v8
	v_fma_f16 v8, v39, v8, -v47
	v_mul_f16_e32 v47, v126, v48
	v_fma_f16 v48, v40, v48, -v64
	;; [unrolled: 2-line block ×3, first 2 shown]
	v_mul_f16_e64 v124, v124, v129
	v_fma_f16 v126, v38, v129, -v130
	s_wait_dscnt 0x1
	v_lshrrev_b32_e32 v140, 16, v4
	v_mul_f16_e64 v121, v121, v131
	v_mul_f16_e64 v122, v122, v133
	;; [unrolled: 1-line block ×3, first 2 shown]
	v_fma_f16 v129, v33, v135, -v136
	v_mul_f16_e64 v120, v120, v137
	v_fma_f16 v130, v34, v137, -v138
	v_lshrrev_b32_e32 v139, 16, v5
	v_fma_f16 v127, v35, v131, -v132
	v_fma_f16 v128, v36, v133, -v134
	v_fmac_f16_e32 v125, v39, v0
	v_fmac_f16_e32 v47, v40, v2
	;; [unrolled: 1-line block ×4, first 2 shown]
	v_add_f16_e32 v0, v123, v126
	s_wait_dscnt 0x0
	v_lshrrev_b32_e32 v141, 16, v46
	v_fmac_f16_e32 v121, v35, v6
	v_fmac_f16_e32 v122, v36, v42
	;; [unrolled: 1-line block ×4, first 2 shown]
	v_add_f16_e32 v3, v8, v48
	v_add_f16_e64 v6, v140, v8
	v_sub_f16_e32 v7, v8, v48
	v_add_f16_e64 v8, v129, v130
	v_lshrrev_b32_e32 v142, 16, v45
	v_add_f16_e64 v1, v139, v123
	v_add_f16_e64 v35, v127, v128
	v_fmac_f16_e64 v139, -0.5, v0
	v_add_f16_e32 v0, v64, v124
	v_sub_f16_e32 v39, v64, v124
	v_add_f16_e32 v40, v125, v47
	v_add_f16_e32 v42, v4, v125
	v_add_f16_e64 v33, v141, v129
	v_add_f16_e32 v38, v5, v64
	v_fmac_f16_e64 v140, -0.5, v3
	v_sub_f16_e32 v3, v125, v47
	v_fmac_f16_e64 v141, -0.5, v8
	v_add_f16_e32 v8, v119, v120
	v_add_f16_e32 v64, v121, v122
	v_sub_f16_e32 v2, v123, v126
	v_add_f16_e64 v36, v142, v127
	v_add_f16_e32 v6, v6, v48
	v_add_f16_e32 v43, v46, v119
	v_fmac_f16_e64 v142, -0.5, v35
	v_sub_f16_e32 v35, v121, v122
	v_fmac_f16_e32 v5, -0.5, v0
	v_fma_f16 v0, 0x3aee, v39, v139
	v_fmac_f16_e64 v139, 0xbaee, v39
	v_fma_f16 v4, -0.5, v40, v4
	v_add_f16_e32 v39, v42, v47
	v_sub_f16_e64 v34, v129, v130
	v_sub_f16_e64 v37, v127, v128
	v_add_f16_e32 v1, v1, v126
	v_sub_f16_e32 v48, v119, v120
	v_add_f16_e32 v119, v45, v121
	v_fma_f16 v40, 0x3aee, v3, v140
	v_fmac_f16_e64 v140, 0xbaee, v3
	v_add_f16_e32 v3, v38, v124
	v_fmac_f16_e32 v46, -0.5, v8
	v_fma_f16 v38, -0.5, v64, v45
	v_fma_f16 v45, 0x3aee, v35, v142
	v_fmac_f16_e64 v142, 0xbaee, v35
	v_add_f16_e32 v35, v43, v120
	v_fmamk_f16 v43, v2, 0xbaee, v5
	v_fmac_f16_e32 v5, 0x3aee, v2
	v_pack_b32_f16 v2, v39, v6
	v_fmamk_f16 v6, v7, 0xbaee, v4
	v_fmac_f16_e32 v4, 0x3aee, v7
	v_add_f16_e64 v36, v36, v128
	v_fma_f16 v8, 0x3aee, v48, v141
	v_add_f16_e32 v42, v119, v122
	v_pack_b32_f16 v1, v3, v1
	v_fmamk_f16 v3, v34, 0xbaee, v46
	v_fmac_f16_e32 v46, 0x3aee, v34
	v_fmamk_f16 v34, v37, 0xbaee, v38
	v_add_f16_e64 v33, v33, v130
	v_fmac_f16_e64 v141, 0xbaee, v48
	v_fmac_f16_e32 v38, 0x3aee, v37
	v_pack_b32_f16 v6, v6, v40
	v_pack_b32_f16 v4, v4, v140
	;; [unrolled: 1-line block ×7, first 2 shown]
	global_wb scope:SCOPE_SE
	s_barrier_signal -1
	s_barrier_wait -1
	global_inv scope:SCOPE_SE
	v_pack_b32_f16 v33, v35, v33
	v_pack_b32_f16 v35, v46, v141
	;; [unrolled: 1-line block ×3, first 2 shown]
	ds_store_2addr_b32 v115, v2, v6 offset1:36
	ds_store_b32 v115, v4 offset:288
	ds_store_2addr_b32 v118, v1, v0 offset1:36
	ds_store_b32 v118, v5 offset:288
	ds_store_2addr_b32 v116, v7, v34 offset1:36
	ds_store_b32 v116, v36 offset:288
	ds_store_2addr_b32 v117, v33, v3 offset1:36
	ds_store_b32 v117, v35 offset:288
	global_wb scope:SCOPE_SE
	s_wait_dscnt 0x0
	s_barrier_signal -1
	s_barrier_wait -1
	global_inv scope:SCOPE_SE
	ds_load_2addr_b32 v[0:1], v78 offset0:12 offset1:255
	ds_load_2addr_b32 v[2:3], v79 offset0:8 offset1:251
	v_lshlrev_b64_e32 v[4:5], 2, v[49:50]
	ds_load_2addr_b32 v[33:34], v80 offset0:2 offset1:245
	ds_load_2addr_b32 v[35:36], v77 offset0:6 offset1:249
	v_mov_b32_e32 v42, v44
	v_add_co_u32 v39, vcc_lo, s0, v4
	s_wait_alu 0xfffd
	v_add_co_ci_u32_e32 v40, vcc_lo, s1, v5, vcc_lo
	ds_load_2addr_b32 v[4:5], v51 offset1:243
	ds_load_2addr_b32 v[37:38], v81 offset0:6 offset1:249
	v_lshlrev_b64_e32 v[6:7], 2, v[41:42]
	global_wb scope:SCOPE_SE
	s_wait_dscnt 0x0
	s_barrier_signal -1
	s_barrier_wait -1
	global_inv scope:SCOPE_SE
	s_mul_i32 s0, s5, 0xffffddd4
	v_lshrrev_b32_e32 v8, 16, v0
	v_mul_f16_e32 v41, v92, v0
	v_lshrrev_b32_e32 v42, 16, v2
	v_mul_f16_e32 v43, v93, v2
	v_lshrrev_b32_e32 v44, 16, v1
	v_mul_f16_e32 v45, v90, v1
	v_lshrrev_b32_e32 v46, 16, v3
	v_mul_f16_e32 v47, v91, v3
	v_lshrrev_b32_e32 v48, 16, v33
	v_mul_f16_e32 v49, v88, v33
	v_lshrrev_b32_e32 v50, 16, v35
	v_mul_f16_e32 v64, v89, v35
	v_lshrrev_b32_e32 v115, 16, v34
	v_lshrrev_b32_e32 v117, 16, v36
	v_mul_f16_e32 v92, v92, v8
	v_fma_f16 v8, v15, v8, -v41
	v_mul_f16_e32 v41, v93, v42
	v_fma_f16 v42, v16, v42, -v43
	v_mul_f16_e32 v43, v90, v44
	v_mul_f16_e32 v90, v91, v46
	v_fma_f16 v44, v13, v44, -v45
	v_fma_f16 v45, v14, v46, -v47
	v_mul_f16_e32 v116, v86, v34
	v_mul_f16_e32 v118, v87, v36
	;; [unrolled: 1-line block ×3, first 2 shown]
	v_fma_f16 v47, v11, v48, -v49
	v_mul_f16_e32 v48, v89, v50
	v_fma_f16 v49, v12, v50, -v64
	v_mul_f16_e32 v50, v86, v115
	v_mul_f16_e32 v64, v87, v117
	v_lshrrev_b32_e32 v119, 16, v5
	v_fmac_f16_e32 v92, v15, v0
	v_fmac_f16_e32 v41, v16, v2
	;; [unrolled: 1-line block ×4, first 2 shown]
	v_add_f16_e32 v0, v44, v45
	v_lshrrev_b32_e32 v120, 16, v4
	v_lshrrev_b32_e32 v121, 16, v37
	;; [unrolled: 1-line block ×3, first 2 shown]
	v_fma_f16 v86, v9, v115, -v116
	v_fma_f16 v87, v10, v117, -v118
	v_fmac_f16_e32 v46, v11, v33
	v_fmac_f16_e32 v48, v12, v35
	;; [unrolled: 1-line block ×4, first 2 shown]
	v_add_f16_e32 v1, v119, v44
	v_add_f16_e32 v9, v8, v42
	;; [unrolled: 1-line block ×3, first 2 shown]
	v_fmac_f16_e32 v119, -0.5, v0
	v_add_f16_e32 v0, v43, v90
	v_add_f16_e32 v34, v92, v41
	;; [unrolled: 1-line block ×7, first 2 shown]
	v_sub_f16_e32 v33, v43, v90
	v_add_f16_e32 v36, v46, v48
	v_add_f16_e32 v43, v50, v64
	v_sub_f16_e32 v2, v44, v45
	v_sub_f16_e32 v8, v8, v42
	v_add_f16_e32 v35, v4, v92
	v_fmac_f16_e32 v120, -0.5, v9
	v_fmac_f16_e32 v121, -0.5, v11
	v_sub_f16_e32 v11, v92, v41
	v_fmac_f16_e32 v5, -0.5, v0
	v_fma_f16 v4, -0.5, v34, v4
	v_sub_f16_e32 v12, v47, v49
	v_sub_f16_e32 v15, v86, v87
	v_add_f16_e32 v3, v3, v42
	v_add_f16_e32 v9, v10, v49
	;; [unrolled: 1-line block ×3, first 2 shown]
	v_fmac_f16_e32 v122, -0.5, v14
	v_add_f16_e32 v13, v37, v46
	v_sub_f16_e32 v14, v46, v48
	v_add_f16_e32 v42, v38, v50
	v_sub_f16_e32 v44, v50, v64
	v_fmac_f16_e32 v38, -0.5, v43
	v_fma_f16 v36, -0.5, v36, v37
	v_fmamk_f16 v0, v33, 0x3aee, v119
	v_fmac_f16_e32 v119, 0xbaee, v33
	v_add_f16_e32 v33, v35, v41
	v_fmamk_f16 v34, v11, 0x3aee, v120
	v_fmamk_f16 v37, v2, 0xbaee, v5
	v_fmac_f16_e32 v5, 0x3aee, v2
	v_fmamk_f16 v2, v8, 0xbaee, v4
	v_fmac_f16_e32 v120, 0xbaee, v11
	v_fmac_f16_e32 v4, 0x3aee, v8
	v_add_f16_e32 v1, v1, v45
	v_add_f16_e32 v11, v16, v90
	;; [unrolled: 1-line block ×3, first 2 shown]
	v_fmamk_f16 v16, v14, 0x3aee, v121
	v_fmac_f16_e32 v121, 0xbaee, v14
	v_add_f16_e32 v14, v42, v64
	v_fmamk_f16 v35, v44, 0x3aee, v122
	v_fmac_f16_e32 v122, 0xbaee, v44
	v_fmamk_f16 v8, v12, 0xbaee, v36
	v_fmac_f16_e32 v36, 0x3aee, v12
	;; [unrolled: 2-line block ×3, first 2 shown]
	v_pack_b32_f16 v3, v33, v3
	v_pack_b32_f16 v2, v2, v34
	;; [unrolled: 1-line block ×12, first 2 shown]
	ds_store_2addr_b32 v82, v3, v2 offset1:108
	ds_store_b32 v82, v4 offset:864
	ds_store_2addr_b32 v85, v1, v0 offset1:108
	ds_store_b32 v85, v5 offset:864
	;; [unrolled: 2-line block ×4, first 2 shown]
	global_wb scope:SCOPE_SE
	s_wait_dscnt 0x0
	s_barrier_signal -1
	s_barrier_wait -1
	global_inv scope:SCOPE_SE
	ds_load_2addr_b32 v[8:9], v51 offset1:243
	ds_load_2addr_b32 v[10:11], v78 offset0:12 offset1:255
	ds_load_2addr_b32 v[12:13], v79 offset0:8 offset1:251
	v_add_co_u32 v0, vcc_lo, v39, v6
	s_wait_alu 0xfffd
	v_add_co_ci_u32_e32 v1, vcc_lo, v40, v7, vcc_lo
	ds_load_2addr_b32 v[6:7], v80 offset0:2 offset1:245
	ds_load_2addr_b32 v[14:15], v77 offset0:6 offset1:249
	;; [unrolled: 1-line block ×3, first 2 shown]
	global_wb scope:SCOPE_SE
	s_wait_dscnt 0x0
	s_barrier_signal -1
	s_barrier_wait -1
	global_inv scope:SCOPE_SE
	s_wait_alu 0xfffe
	v_add_co_u32 v2, vcc_lo, v0, s2
	s_wait_alu 0xfffd
	v_add_co_ci_u32_e32 v3, vcc_lo, s3, v1, vcc_lo
	s_sub_co_i32 s0, s0, s4
	s_delay_alu instid0(VALU_DEP_2)
	v_add_co_u32 v4, vcc_lo, v2, s2
	v_lshrrev_b32_e32 v16, 16, v8
	v_lshrrev_b32_e32 v35, 16, v10
	;; [unrolled: 1-line block ×3, first 2 shown]
	v_mul_f16_e32 v40, v105, v10
	v_lshrrev_b32_e32 v38, 16, v11
	v_lshrrev_b32_e32 v39, 16, v13
	;; [unrolled: 1-line block ×4, first 2 shown]
	v_mul_f16_e32 v43, v106, v12
	v_lshrrev_b32_e32 v44, 16, v7
	v_mul_f16_e32 v45, v103, v11
	v_lshrrev_b32_e32 v46, 16, v15
	v_mul_f16_e32 v47, v104, v13
	v_mul_f16_e32 v48, v101, v6
	;; [unrolled: 1-line block ×6, first 2 shown]
	v_fma_f16 v35, v23, v35, -v40
	v_mul_f16_e32 v40, v106, v36
	v_lshrrev_b32_e32 v37, 16, v9
	v_fma_f16 v36, v24, v36, -v43
	v_mul_f16_e32 v43, v103, v38
	v_fma_f16 v38, v21, v38, -v45
	v_mul_f16_e32 v45, v104, v39
	;; [unrolled: 2-line block ×6, first 2 shown]
	v_fma_f16 v46, v18, v46, -v64
	v_fmac_f16_e32 v84, v23, v10
	v_fmac_f16_e32 v40, v24, v12
	;; [unrolled: 1-line block ×8, first 2 shown]
	v_add_f16_e32 v7, v16, v35
	v_add_f16_e32 v12, v37, v38
	v_lshrrev_b32_e32 v82, 16, v33
	v_lshrrev_b32_e32 v83, 16, v34
	v_add_f16_e32 v10, v35, v36
	v_add_f16_e32 v13, v38, v39
	;; [unrolled: 1-line block ×4, first 2 shown]
	v_sub_f16_e32 v6, v35, v36
	v_sub_f16_e32 v11, v38, v39
	v_add_f16_e32 v17, v41, v42
	v_add_f16_e32 v7, v7, v36
	v_add_f16_e32 v24, v43, v45
	v_add_f16_e32 v12, v12, v39
	v_add_f16_e32 v36, v47, v48
	v_add_f16_e32 v39, v49, v50
	v_add_f16_e32 v21, v8, v84
	v_add_f16_e32 v15, v82, v41
	v_add_f16_e32 v19, v83, v44
	v_fmac_f16_e32 v16, -0.5, v10
	v_sub_f16_e32 v10, v84, v40
	v_add_f16_e32 v23, v9, v43
	v_fmac_f16_e32 v37, -0.5, v13
	v_sub_f16_e32 v13, v43, v45
	v_add_f16_e32 v35, v33, v47
	v_fmac_f16_e32 v83, -0.5, v20
	v_sub_f16_e32 v20, v49, v50
	v_fma_f16 v8, -0.5, v22, v8
	v_sub_f16_e32 v14, v41, v42
	v_sub_f16_e32 v18, v44, v46
	v_fmac_f16_e32 v82, -0.5, v17
	v_sub_f16_e32 v17, v47, v48
	v_add_f16_e32 v38, v34, v49
	v_fmac_f16_e32 v9, -0.5, v24
	v_fma_f16 v24, -0.5, v36, v33
	v_fmac_f16_e32 v34, -0.5, v39
	v_add_f16_e32 v21, v21, v40
	v_add_f16_e32 v15, v15, v42
	v_fmamk_f16 v22, v10, 0x3aee, v16
	v_fmac_f16_e32 v16, 0xbaee, v10
	v_add_f16_e32 v10, v23, v45
	v_fmamk_f16 v23, v13, 0x3aee, v37
	v_fmac_f16_e32 v37, 0xbaee, v13
	;; [unrolled: 3-line block ×3, first 2 shown]
	v_fmamk_f16 v20, v6, 0xbaee, v8
	v_fmac_f16_e32 v8, 0x3aee, v6
	v_add_f16_e32 v19, v19, v46
	v_fmamk_f16 v33, v17, 0x3aee, v82
	v_fmac_f16_e32 v82, 0xbaee, v17
	v_add_f16_e32 v17, v38, v50
	v_fmamk_f16 v6, v11, 0xbaee, v9
	v_fmac_f16_e32 v9, 0x3aee, v11
	v_fmamk_f16 v11, v14, 0xbaee, v24
	v_fmac_f16_e32 v24, 0x3aee, v14
	;; [unrolled: 2-line block ×3, first 2 shown]
	v_pack_b32_f16 v7, v21, v7
	v_pack_b32_f16 v10, v10, v12
	;; [unrolled: 1-line block ×12, first 2 shown]
	ds_store_b32 v51, v7
	ds_store_b32 v51, v15 offset:1296
	ds_store_b32 v51, v8 offset:2592
	ds_store_b32 v96, v10
	ds_store_b32 v96, v6 offset:1296
	ds_store_b32 v96, v9 offset:2592
	ds_store_b32 v95, v12
	ds_store_b32 v95, v11 offset:1296
	ds_store_b32 v95, v16 offset:2592
	ds_store_b32 v94, v13 offset:7776
	ds_store_b32 v94, v14 offset:9072
	;; [unrolled: 1-line block ×3, first 2 shown]
	global_wb scope:SCOPE_SE
	s_wait_dscnt 0x0
	s_barrier_signal -1
	s_barrier_wait -1
	global_inv scope:SCOPE_SE
	ds_load_2addr_b32 v[12:13], v51 offset1:243
	ds_load_2addr_b32 v[14:15], v78 offset0:12 offset1:255
	ds_load_2addr_b32 v[16:17], v79 offset0:8 offset1:251
	;; [unrolled: 1-line block ×5, first 2 shown]
	s_wait_alu 0xfffd
	v_add_co_ci_u32_e32 v5, vcc_lo, s3, v3, vcc_lo
	v_add_co_u32 v6, vcc_lo, v4, s2
	s_wait_alu 0xfffd
	s_delay_alu instid0(VALU_DEP_2) | instskip(NEXT) | instid1(VALU_DEP_2)
	v_add_co_ci_u32_e32 v7, vcc_lo, s3, v5, vcc_lo
	v_add_co_u32 v8, vcc_lo, v6, s2
	s_wait_alu 0xfffd
	s_delay_alu instid0(VALU_DEP_2) | instskip(NEXT) | instid1(VALU_DEP_2)
	v_add_co_ci_u32_e32 v9, vcc_lo, s3, v7, vcc_lo
	v_add_co_u32 v10, vcc_lo, v8, s2
	s_wait_dscnt 0x5
	v_lshrrev_b32_e32 v24, 16, v12
	s_wait_dscnt 0x4
	v_lshrrev_b32_e32 v33, 16, v14
	;; [unrolled: 2-line block ×3, first 2 shown]
	v_mul_f16_e32 v44, v113, v14
	v_lshrrev_b32_e32 v36, 16, v15
	v_lshrrev_b32_e32 v37, 16, v17
	s_wait_dscnt 0x1
	v_lshrrev_b32_e32 v39, 16, v20
	s_wait_dscnt 0x0
	v_lshrrev_b32_e32 v40, 16, v22
	v_mul_f16_e32 v45, v114, v16
	v_mul_f16_e32 v46, v111, v15
	;; [unrolled: 1-line block ×4, first 2 shown]
	v_lshrrev_b32_e32 v42, 16, v21
	v_lshrrev_b32_e32 v43, 16, v23
	v_mul_f16_e32 v49, v110, v22
	v_mul_f16_e32 v50, v107, v21
	;; [unrolled: 1-line block ×4, first 2 shown]
	v_fma_f16 v33, v29, v33, -v44
	v_mul_f16_e32 v44, v114, v34
	v_fma_f16 v34, v30, v34, -v45
	v_mul_f16_e32 v45, v111, v36
	;; [unrolled: 2-line block ×5, first 2 shown]
	v_lshrrev_b32_e32 v35, 16, v13
	v_fma_f16 v40, v26, v40, -v49
	v_mul_f16_e32 v49, v107, v42
	v_fma_f16 v42, v31, v42, -v50
	v_mul_f16_e32 v50, v108, v43
	v_fma_f16 v43, v32, v43, -v64
	v_fmac_f16_e32 v82, v29, v14
	v_fmac_f16_e32 v44, v30, v16
	;; [unrolled: 1-line block ×6, first 2 shown]
	v_add_f16_e32 v15, v24, v33
	v_fmac_f16_e32 v49, v31, v21
	v_fmac_f16_e32 v50, v32, v23
	v_add_f16_e32 v20, v35, v36
	v_lshrrev_b32_e32 v38, 16, v18
	v_lshrrev_b32_e32 v41, 16, v19
	v_add_f16_e32 v16, v33, v34
	v_add_f16_e32 v21, v36, v37
	;; [unrolled: 1-line block ×4, first 2 shown]
	v_sub_f16_e32 v14, v33, v34
	v_add_f16_e32 v25, v39, v40
	v_add_f16_e32 v15, v15, v34
	;; [unrolled: 1-line block ×4, first 2 shown]
	v_sub_f16_e32 v17, v36, v37
	v_add_f16_e32 v20, v20, v37
	v_add_f16_e32 v37, v49, v50
	;; [unrolled: 1-line block ×5, first 2 shown]
	v_fmac_f16_e32 v24, -0.5, v16
	v_sub_f16_e32 v16, v82, v44
	v_add_f16_e32 v31, v13, v45
	v_fmac_f16_e32 v35, -0.5, v21
	v_sub_f16_e32 v21, v45, v46
	v_add_f16_e32 v33, v18, v47
	v_fmac_f16_e32 v41, -0.5, v28
	v_sub_f16_e32 v28, v49, v50
	v_fma_f16 v12, -0.5, v30, v12
	v_sub_f16_e32 v22, v39, v40
	v_fmac_f16_e32 v38, -0.5, v25
	v_sub_f16_e32 v25, v47, v48
	v_fmac_f16_e32 v13, -0.5, v32
	v_fma_f16 v18, -0.5, v34, v18
	v_sub_f16_e32 v26, v42, v43
	v_add_f16_e32 v36, v19, v49
	v_fmac_f16_e32 v19, -0.5, v37
	v_add_f16_e32 v23, v23, v40
	v_fmamk_f16 v30, v16, 0x3aee, v24
	v_fmac_f16_e32 v24, 0xbaee, v16
	v_add_f16_e32 v16, v31, v46
	v_fmamk_f16 v31, v21, 0x3aee, v35
	v_fmac_f16_e32 v35, 0xbaee, v21
	;; [unrolled: 3-line block ×3, first 2 shown]
	v_fmamk_f16 v28, v14, 0xbaee, v12
	v_fmac_f16_e32 v12, 0x3aee, v14
	v_add_f16_e32 v29, v29, v44
	v_fmamk_f16 v32, v25, 0x3aee, v38
	v_fmamk_f16 v14, v17, 0xbaee, v13
	v_fmac_f16_e32 v13, 0x3aee, v17
	v_fmamk_f16 v17, v22, 0xbaee, v18
	v_add_f16_e32 v27, v27, v43
	v_fmac_f16_e32 v38, 0xbaee, v25
	v_add_f16_e32 v25, v36, v50
	v_fmac_f16_e32 v18, 0x3aee, v22
	v_fmamk_f16 v22, v26, 0xbaee, v19
	v_fmac_f16_e32 v19, 0x3aee, v26
	v_pack_b32_f16 v16, v16, v20
	v_pack_b32_f16 v20, v21, v23
	;; [unrolled: 1-line block ×12, first 2 shown]
	ds_store_b32 v51, v23 offset:3888
	ds_store_b32 v51, v12 offset:7776
	ds_store_2addr_b32 v51, v15, v16 offset1:243
	ds_store_2addr_b32 v97, v14, v17 offset0:7 offset1:250
	ds_store_2addr_b32 v98, v13, v18 offset0:11 offset1:254
	;; [unrolled: 1-line block ×3, first 2 shown]
	ds_store_b32 v51, v22 offset:6804
	ds_store_b32 v51, v19 offset:10692
	global_wb scope:SCOPE_SE
	s_wait_dscnt 0x0
	s_barrier_signal -1
	s_barrier_wait -1
	global_inv scope:SCOPE_SE
	ds_load_2addr_b32 v[16:17], v51 offset1:243
	ds_load_2addr_b32 v[18:19], v81 offset0:6 offset1:249
	ds_load_2addr_b32 v[20:21], v78 offset0:12 offset1:255
	;; [unrolled: 1-line block ×5, first 2 shown]
	s_wait_alu 0xfffd
	v_add_co_ci_u32_e32 v11, vcc_lo, s3, v9, vcc_lo
	s_delay_alu instid0(VALU_DEP_1) | instskip(SKIP_1) | instid1(VALU_DEP_1)
	v_mad_co_u64_u32 v[12:13], null, 0xffffddd4, s4, v[10:11]
	s_wait_alu 0xfffe
	v_add_nc_u32_e32 v13, s0, v13
	s_mov_b32 s0, 0xe0bf08c7
	s_wait_dscnt 0x5
	v_lshrrev_b32_e32 v28, 16, v16
	s_wait_dscnt 0x4
	v_lshrrev_b32_e32 v29, 16, v18
	v_mul_f16_e32 v30, v76, v18
	s_wait_dscnt 0x3
	v_lshrrev_b32_e32 v31, 16, v20
	v_mul_f16_e32 v32, v74, v20
	;; [unrolled: 3-line block ×5, first 2 shown]
	v_lshrrev_b32_e32 v39, 16, v17
	v_mul_f16_e32 v40, v66, v17
	v_lshrrev_b32_e32 v41, 16, v19
	v_mul_f16_e32 v42, v67, v19
	;; [unrolled: 2-line block ×4, first 2 shown]
	v_mul_f16_e32 v51, v75, v16
	v_mul_f16_e32 v64, v75, v28
	;; [unrolled: 1-line block ×3, first 2 shown]
	v_fma_f16 v29, v61, v29, -v30
	v_lshrrev_b32_e32 v47, 16, v25
	v_mul_f16_e32 v48, v70, v25
	v_lshrrev_b32_e32 v49, 16, v27
	v_mul_f16_e32 v50, v71, v27
	v_mul_f16_e32 v74, v74, v31
	v_fma_f16 v30, v60, v31, -v32
	v_mul_f16_e32 v73, v73, v33
	v_fma_f16 v31, v58, v33, -v34
	;; [unrolled: 2-line block ×3, first 2 shown]
	v_fma_f16 v33, v59, v37, -v38
	v_fma_f16 v34, v57, v39, -v40
	;; [unrolled: 1-line block ×5, first 2 shown]
	v_mul_f16_e32 v44, v65, v37
	v_mul_f16_e32 v39, v66, v39
	;; [unrolled: 1-line block ×5, first 2 shown]
	v_cvt_f32_f16_e32 v29, v29
	v_fma_f16 v40, v63, v47, -v48
	v_fma_f16 v42, v62, v49, -v50
	;; [unrolled: 1-line block ×3, first 2 shown]
	v_mul_f16_e32 v46, v70, v47
	v_mul_f16_e32 v47, v71, v49
	v_cvt_f32_f16_e32 v30, v30
	v_cvt_f32_f16_e32 v32, v32
	v_fmac_f16_e32 v64, v55, v16
	v_fmac_f16_e32 v75, v61, v18
	;; [unrolled: 1-line block ×10, first 2 shown]
	v_cvt_f64_f32_e32 v[16:17], v29
	v_cvt_f32_f16_e32 v31, v31
	v_cvt_f32_f16_e32 v33, v33
	;; [unrolled: 1-line block ×8, first 2 shown]
	v_fmac_f16_e32 v46, v63, v25
	v_fmac_f16_e32 v47, v62, v27
	v_cvt_f32_f16_e32 v42, v28
	v_cvt_f64_f32_e32 v[18:19], v30
	v_cvt_f64_f32_e32 v[22:23], v32
	v_cvt_f32_f16_e32 v48, v64
	v_cvt_f32_f16_e32 v49, v75
	;; [unrolled: 1-line block ×10, first 2 shown]
	v_cvt_f64_f32_e32 v[20:21], v31
	v_cvt_f64_f32_e32 v[24:25], v33
	;; [unrolled: 1-line block ×8, first 2 shown]
	v_cvt_f32_f16_e32 v60, v46
	v_cvt_f32_f16_e32 v62, v47
	v_cvt_f64_f32_e32 v[38:39], v42
	v_cvt_f64_f32_e32 v[40:41], v48
	v_cvt_f64_f32_e32 v[42:43], v49
	v_cvt_f64_f32_e32 v[44:45], v50
	v_cvt_f64_f32_e32 v[46:47], v51
	v_cvt_f64_f32_e32 v[48:49], v52
	v_cvt_f64_f32_e32 v[50:51], v53
	v_cvt_f64_f32_e32 v[52:53], v54
	v_cvt_f64_f32_e32 v[54:55], v55
	v_cvt_f64_f32_e32 v[56:57], v56
	v_cvt_f64_f32_e32 v[58:59], v58
	s_mov_b32 s1, 0x3f367980
	v_cvt_f64_f32_e32 v[60:61], v60
	s_wait_alu 0xfffe
	v_mul_f64_e32 v[64:65], s[0:1], v[16:17]
	v_cvt_f64_f32_e32 v[62:63], v62
	v_add_co_u32 v14, vcc_lo, v12, s2
	v_mul_f64_e32 v[66:67], s[0:1], v[18:19]
	v_mul_f64_e32 v[70:71], s[0:1], v[22:23]
	s_wait_alu 0xfffd
	v_add_co_ci_u32_e32 v15, vcc_lo, s3, v13, vcc_lo
	v_add_co_u32 v16, vcc_lo, v14, s2
	s_wait_alu 0xfffd
	s_delay_alu instid0(VALU_DEP_2) | instskip(NEXT) | instid1(VALU_DEP_2)
	v_add_co_ci_u32_e32 v17, vcc_lo, s3, v15, vcc_lo
	v_add_co_u32 v18, vcc_lo, v16, s2
	v_mul_f64_e32 v[68:69], s[0:1], v[20:21]
	v_mul_f64_e32 v[24:25], s[0:1], v[24:25]
	v_mul_f64_e32 v[26:27], s[0:1], v[26:27]
	v_mul_f64_e32 v[72:73], s[0:1], v[28:29]
	s_wait_alu 0xfffd
	v_add_co_ci_u32_e32 v19, vcc_lo, s3, v17, vcc_lo
	v_mul_f64_e32 v[78:79], s[0:1], v[34:35]
	v_mul_f64_e32 v[35:36], s[0:1], v[36:37]
	;; [unrolled: 1-line block ×3, first 2 shown]
	v_add_co_u32 v20, vcc_lo, v18, s2
	v_mul_f64_e32 v[28:29], s[0:1], v[38:39]
	v_mul_f64_e32 v[37:38], s[0:1], v[40:41]
	;; [unrolled: 1-line block ×12, first 2 shown]
	s_wait_alu 0xfffd
	v_add_co_ci_u32_e32 v21, vcc_lo, s3, v19, vcc_lo
	v_mul_f64_e32 v[57:58], s[0:1], v[60:61]
	v_and_or_b32 v61, 0x1ff, v65, v64
	v_add_co_u32 v22, vcc_lo, v20, s2
	s_wait_alu 0xfffd
	v_add_co_ci_u32_e32 v23, vcc_lo, s3, v21, vcc_lo
	v_mul_f64_e32 v[59:60], s[0:1], v[62:63]
	v_and_or_b32 v63, 0x1ff, v67, v66
	v_bfe_u32 v84, v71, 20, 11
	v_cmp_ne_u32_e32 vcc_lo, 0, v61
	v_and_or_b32 v70, 0x1ff, v71, v70
	v_lshrrev_b32_e32 v80, 8, v65
	v_bfe_u32 v62, v65, 20, 11
	v_and_or_b32 v66, 0x1ff, v69, v68
	v_bfe_u32 v87, v25, 20, 11
	v_sub_nc_u32_e32 v111, 0x3f1, v84
	v_and_or_b32 v88, 0x1ff, v27, v26
	v_bfe_u32 v90, v27, 20, 11
	v_and_or_b32 v85, 0x1ff, v25, v24
	v_sub_nc_u32_e32 v112, 0x3f1, v87
	v_bfe_u32 v92, v73, 20, 11
	v_and_or_b32 v76, 0x1ff, v77, v76
	v_lshrrev_b32_e32 v95, 8, v77
	v_bfe_u32 v96, v77, 20, 11
	v_lshrrev_b32_e32 v26, 16, v77
	v_sub_nc_u32_e32 v113, 0x3f1, v90
	v_and_or_b32 v77, 0x1ff, v40, v39
	v_sub_nc_u32_e32 v114, 0x3f1, v92
	v_and_or_b32 v108, 0x1ff, v44, v43
	v_lshrrev_b32_e32 v109, 8, v44
	v_bfe_u32 v119, v44, 20, 11
	v_lshrrev_b32_e32 v39, 16, v44
	v_and_or_b32 v129, 0x1ff, v52, v51
	v_and_or_b32 v132, 0x1ff, v54, v53
	;; [unrolled: 1-line block ×3, first 2 shown]
	v_add_nc_u32_e32 v55, 0xfffffc10, v84
	s_wait_alu 0xfffd
	v_cndmask_b32_e64 v84, 0, 1, vcc_lo
	v_cmp_ne_u32_e32 vcc_lo, 0, v63
	v_lshrrev_b32_e32 v133, 8, v54
	v_bfe_u32 v134, v54, 20, 11
	v_lshrrev_b32_e32 v44, 16, v54
	v_add_nc_u32_e32 v54, 0xfffffc10, v87
	s_wait_alu 0xfffd
	v_cndmask_b32_e64 v87, 0, 1, vcc_lo
	v_cmp_ne_u32_e32 vcc_lo, 0, v66
	v_add_nc_u32_e32 v53, 0xfffffc10, v90
	v_lshrrev_b32_e32 v130, 8, v52
	v_bfe_u32 v131, v52, 20, 11
	v_lshrrev_b32_e32 v43, 16, v52
	s_wait_alu 0xfffd
	v_cndmask_b32_e64 v90, 0, 1, vcc_lo
	v_cmp_ne_u32_e32 vcc_lo, 0, v70
	v_add_nc_u32_e32 v52, 0xfffffc10, v92
	v_and_or_b32 v72, 0x1ff, v73, v72
	v_and_or_b32 v74, 0x1ff, v75, v74
	;; [unrolled: 1-line block ×3, first 2 shown]
	s_wait_alu 0xfffd
	v_cndmask_b32_e64 v92, 0, 1, vcc_lo
	v_cmp_ne_u32_e32 vcc_lo, 0, v85
	v_and_or_b32 v99, 0x1ff, v36, v35
	v_bfe_u32 v94, v75, 20, 11
	v_and_or_b32 v102, 0x1ff, v29, v28
	v_lshrrev_b32_e32 v91, 8, v73
	s_wait_alu 0xfffd
	v_cndmask_b32_e64 v85, 0, 1, vcc_lo
	v_cmp_ne_u32_e32 vcc_lo, 0, v88
	v_lshrrev_b32_e32 v28, 16, v73
	v_and_or_b32 v73, 0x1ff, v38, v37
	v_sub_nc_u32_e32 v115, 0x3f1, v94
	v_add_nc_u32_e32 v51, 0xfffffc10, v94
	s_wait_alu 0xfffd
	v_cndmask_b32_e64 v88, 0, 1, vcc_lo
	v_cmp_ne_u32_e32 vcc_lo, 0, v72
	v_lshrrev_b32_e32 v89, 8, v27
	v_lshrrev_b32_e32 v93, 8, v75
	;; [unrolled: 1-line block ×3, first 2 shown]
	v_bfe_u32 v101, v36, 20, 11
	s_wait_alu 0xfffd
	v_cndmask_b32_e64 v72, 0, 1, vcc_lo
	v_cmp_ne_u32_e32 vcc_lo, 0, v74
	v_lshrrev_b32_e32 v103, 8, v29
	v_bfe_u32 v104, v29, 20, 11
	v_lshrrev_b32_e32 v35, 16, v29
	v_lshrrev_b32_e32 v34, 16, v65
	s_wait_alu 0xfffd
	v_cndmask_b32_e64 v74, 0, 1, vcc_lo
	v_cmp_ne_u32_e32 vcc_lo, 0, v76
	v_lshrrev_b32_e32 v29, 16, v27
	v_lshrrev_b32_e32 v27, 16, v75
	;; [unrolled: 1-line block ×4, first 2 shown]
	s_wait_alu 0xfffd
	v_cndmask_b32_e64 v76, 0, 1, vcc_lo
	v_cmp_ne_u32_e32 vcc_lo, 0, v78
	v_bfe_u32 v65, v38, 20, 11
	v_and_or_b32 v105, 0x1ff, v42, v41
	v_lshrrev_b32_e32 v106, 8, v42
	v_bfe_u32 v107, v42, 20, 11
	s_wait_alu 0xfffd
	v_cndmask_b32_e64 v78, 0, 1, vcc_lo
	v_cmp_ne_u32_e32 vcc_lo, 0, v99
	v_sub_nc_u32_e32 v116, 0x3f1, v96
	v_and_or_b32 v126, 0x1ff, v50, v49
	v_lshrrev_b32_e32 v127, 8, v50
	v_bfe_u32 v128, v50, 20, 11
	s_wait_alu 0xfffd
	v_cndmask_b32_e64 v94, 0, 1, vcc_lo
	v_cmp_ne_u32_e32 vcc_lo, 0, v102
	v_lshrrev_b32_e32 v36, 16, v38
	v_lshrrev_b32_e32 v38, 16, v42
	;; [unrolled: 1-line block ×3, first 2 shown]
	v_add_nc_u32_e32 v50, 0xfffffc10, v96
	s_wait_alu 0xfffd
	v_cndmask_b32_e64 v96, 0, 1, vcc_lo
	v_cmp_ne_u32_e32 vcc_lo, 0, v73
	v_lshrrev_b32_e32 v86, 8, v25
	v_and_or_b32 v120, 0x1ff, v46, v45
	v_and_or_b32 v80, 0xffe, v80, v84
	;; [unrolled: 1-line block ×3, first 2 shown]
	s_wait_alu 0xfffd
	v_cndmask_b32_e64 v73, 0, 1, vcc_lo
	v_cmp_ne_u32_e32 vcc_lo, 0, v77
	v_and_or_b32 v84, 0xffe, v86, v85
	v_and_or_b32 v85, 0xffe, v89, v88
	v_lshrrev_b32_e32 v82, 8, v69
	v_lshrrev_b32_e32 v83, 8, v71
	s_wait_alu 0xfffd
	v_cndmask_b32_e64 v77, 0, 1, vcc_lo
	v_cmp_ne_u32_e32 vcc_lo, 0, v105
	v_and_or_b32 v72, 0xffe, v91, v72
	v_and_or_b32 v82, 0xffe, v82, v90
	v_and_or_b32 v83, 0xffe, v83, v92
	v_lshrrev_b32_e32 v81, 8, v67
	s_wait_alu 0xfffd
	v_cndmask_b32_e64 v86, 0, 1, vcc_lo
	v_cmp_ne_u32_e32 vcc_lo, 0, v108
	v_and_or_b32 v138, 0x1ff, v58, v57
	v_and_or_b32 v74, 0xffe, v93, v74
	v_bfe_u32 v68, v69, 20, 11
	v_and_or_b32 v141, 0x1ff, v60, v59
	s_wait_alu 0xfffd
	v_cndmask_b32_e64 v88, 0, 1, vcc_lo
	v_cmp_ne_u32_e32 vcc_lo, 0, v120
	v_and_or_b32 v81, 0xffe, v81, v87
	v_and_or_b32 v87, 0xffe, v100, v94
	v_lshrrev_b32_e32 v97, 8, v79
	v_bfe_u32 v98, v79, 20, 11
	s_wait_alu 0xfffd
	v_cndmask_b32_e64 v89, 0, 1, vcc_lo
	v_cmp_ne_u32_e32 vcc_lo, 0, v123
	v_lshrrev_b32_e32 v30, 16, v25
	v_lshrrev_b32_e32 v25, 16, v79
	;; [unrolled: 1-line block ×3, first 2 shown]
	v_sub_nc_u32_e32 v110, 0x3f1, v68
	s_wait_alu 0xfffd
	v_cndmask_b32_e64 v90, 0, 1, vcc_lo
	v_cmp_ne_u32_e32 vcc_lo, 0, v126
	v_bfe_u32 v122, v46, 20, 11
	v_bfe_u32 v140, v58, 20, 11
	v_and_or_b32 v76, 0xffe, v95, v76
	v_bfe_u32 v64, v67, 20, 11
	s_wait_alu 0xfffd
	v_cndmask_b32_e64 v91, 0, 1, vcc_lo
	v_cmp_ne_u32_e32 vcc_lo, 0, v129
	v_lshrrev_b32_e32 v33, 16, v67
	v_bfe_u32 v67, v40, 20, 11
	v_sub_nc_u32_e32 v118, 0x3f1, v101
	v_lshrrev_b32_e32 v124, 8, v48
	s_wait_alu 0xfffd
	v_cndmask_b32_e64 v92, 0, 1, vcc_lo
	v_cmp_ne_u32_e32 vcc_lo, 0, v132
	v_bfe_u32 v125, v48, 20, 11
	v_lshrrev_b32_e32 v142, 8, v60
	v_sub_nc_u32_e32 v144, 0x3f1, v104
	v_lshrrev_b32_e32 v41, 16, v48
	s_wait_alu 0xfffd
	v_cndmask_b32_e64 v93, 0, 1, vcc_lo
	v_cmp_ne_u32_e32 vcc_lo, 0, v135
	v_add_nc_u32_e32 v59, 0xfffffc10, v104
	v_add_nc_u32_e32 v48, 0xfffffc10, v101
	v_med3_i32 v101, v110, 0, 13
	v_med3_i32 v104, v112, 0, 13
	s_wait_alu 0xfffd
	v_cndmask_b32_e64 v94, 0, 1, vcc_lo
	v_cmp_ne_u32_e32 vcc_lo, 0, v138
	v_med3_i32 v112, v114, 0, 13
	v_med3_i32 v114, v115, 0, 13
	;; [unrolled: 1-line block ×3, first 2 shown]
	v_sub_nc_u32_e32 v146, 0x3f1, v122
	s_wait_alu 0xfffd
	v_cndmask_b32_e64 v95, 0, 1, vcc_lo
	v_cmp_ne_u32_e32 vcc_lo, 0, v141
	v_sub_nc_u32_e32 v152, 0x3f1, v140
	v_and_or_b32 v78, 0xffe, v97, v78
	v_and_or_b32 v77, 0xffe, v79, v77
	v_or_b32_e32 v79, 0x1000, v82
	s_wait_alu 0xfffd
	v_cndmask_b32_e64 v97, 0, 1, vcc_lo
	v_and_or_b32 v91, 0xffe, v127, v91
	v_or_b32_e32 v127, 0x1000, v76
	v_bfe_u32 v143, v60, 20, 11
	v_med3_i32 v110, v113, 0, 13
	v_sub_nc_u32_e32 v113, 0x3f1, v67
	v_add_nc_u32_e32 v70, 0xfffffc10, v67
	v_add_nc_u32_e32 v67, 0xfffffc10, v122
	v_med3_i32 v108, v146, 0, 13
	v_med3_i32 v122, v152, 0, 13
	v_and_or_b32 v97, 0xffe, v142, v97
	v_lshrrev_b32_e32 v146, v101, v79
	v_lshrrev_b32_e32 v152, v115, v127
	;; [unrolled: 1-line block ×3, first 2 shown]
	v_add_nc_u32_e32 v60, 0xfffffc10, v143
	v_and_or_b32 v96, 0xffe, v103, v96
	v_lshlrev_b32_e32 v101, v101, v146
	v_lshlrev_b32_e32 v115, v115, v152
	v_cmp_ne_u32_e64 s8, 0, v97
	v_lshrrev_b32_e32 v31, 16, v71
	v_cmp_ne_u32_e32 vcc_lo, 0, v96
	v_cmp_ne_u32_e64 s0, v101, v79
	v_or_b32_e32 v79, 0x1000, v97
	v_cmp_ne_u32_e64 s6, v115, v127
	v_lshl_or_b32 v127, v60, 12, v97
	v_cndmask_b32_e64 v97, 0, 1, s8
	v_sub_nc_u32_e32 v71, 0x3f1, v64
	v_lshrrev_b32_e32 v121, 8, v46
	v_lshrrev_b32_e32 v139, 8, v58
	;; [unrolled: 1-line block ×5, first 2 shown]
	v_add_nc_u32_e32 v58, 0xfffffc10, v62
	v_add_nc_u32_e32 v57, 0xfffffc10, v64
	v_med3_i32 v102, v111, 0, 13
	v_sub_nc_u32_e32 v111, 0x3f1, v65
	v_sub_nc_u32_e32 v147, 0x3f1, v125
	;; [unrolled: 1-line block ×3, first 2 shown]
	v_and_or_b32 v73, 0xffe, v75, v73
	v_and_or_b32 v86, 0xffe, v106, v86
	v_or_b32_e32 v106, 0x1000, v83
	v_and_or_b32 v92, 0xffe, v130, v92
	v_or_b32_e32 v130, 0x1000, v96
	v_lshl_or_b32 v97, v97, 9, 0x7c00
	v_add_nc_u32_e32 v64, 0xfffffc10, v131
	v_lshl_or_b32 v131, v59, 12, v96
	s_wait_alu 0xfffd
	v_cndmask_b32_e64 v96, 0, 1, vcc_lo
	v_cmp_ne_u32_e32 vcc_lo, 0, v80
	v_med3_i32 v99, v71, 0, 13
	v_sub_nc_u32_e32 v148, 0x3f1, v128
	v_add_nc_u32_e32 v71, 0xfffffc10, v65
	v_add_nc_u32_e32 v66, 0xfffffc10, v125
	v_med3_i32 v100, v111, 0, 13
	v_med3_i32 v111, v147, 0, 13
	v_or_b32_e32 v125, 0x1000, v80
	v_and_or_b32 v88, 0xffe, v109, v88
	v_or_b32_e32 v109, 0x1000, v84
	v_lshl_or_b32 v132, v58, 12, v80
	s_wait_alu 0xfffd
	v_cndmask_b32_e64 v80, 0, 1, vcc_lo
	v_cmp_ne_u32_e32 vcc_lo, 0, v81
	v_lshrrev_b32_e32 v147, v102, v106
	v_cmp_ne_u32_e64 s7, 0, v73
	v_lshrrev_b32_e32 v32, 16, v69
	v_sub_nc_u32_e32 v69, 0x3f1, v62
	v_lshrrev_b32_e32 v136, 8, v56
	v_bfe_u32 v137, v56, 20, 11
	v_lshrrev_b32_e32 v45, 16, v56
	v_add_nc_u32_e32 v56, 0xfffffc10, v68
	v_med3_i32 v103, v113, 0, 13
	v_med3_i32 v113, v148, 0, 13
	v_or_b32_e32 v75, 0x1000, v81
	v_and_or_b32 v93, 0xffe, v133, v93
	v_lshl_or_b32 v133, v57, 12, v81
	s_wait_alu 0xfffd
	v_cndmask_b32_e64 v81, 0, 1, vcc_lo
	v_cmp_ne_u32_e32 vcc_lo, 0, v82
	v_lshrrev_b32_e32 v148, v104, v109
	v_or_b32_e32 v155, 0x1000, v73
	v_lshlrev_b32_e32 v102, v102, v147
	v_lshl_or_b32 v101, v71, 12, v73
	s_wait_alu 0xf1ff
	v_cndmask_b32_e64 v73, 0, 1, s7
	v_cmp_ne_u32_e64 s7, 0, v77
	v_sub_nc_u32_e32 v117, 0x3f1, v98
	v_add_nc_u32_e32 v49, 0xfffffc10, v98
	v_med3_i32 v98, v69, 0, 13
	v_sub_nc_u32_e32 v116, 0x3f1, v107
	v_sub_nc_u32_e32 v150, 0x3f1, v134
	v_add_nc_u32_e32 v69, 0xfffffc10, v107
	v_add_nc_u32_e32 v63, 0xfffffc10, v134
	v_and_or_b32 v89, 0xffe, v121, v89
	v_or_b32_e32 v121, 0x1000, v85
	v_lshl_or_b32 v134, v56, 12, v82
	s_wait_alu 0xfffd
	v_cndmask_b32_e64 v82, 0, 1, vcc_lo
	v_cmp_ne_u32_e32 vcc_lo, 0, v83
	v_or_b32_e32 v156, 0x1000, v77
	v_lshlrev_b32_e32 v104, v104, v148
	v_cmp_ne_u32_e64 s1, v102, v106
	v_lshl_or_b32 v106, v70, 12, v77
	s_wait_alu 0xf1ff
	v_cndmask_b32_e64 v77, 0, 1, s7
	v_cmp_ne_u32_e64 s7, 0, v86
	v_add_nc_u32_e32 v68, 0xfffffc10, v119
	v_med3_i32 v105, v116, 0, 13
	v_med3_i32 v116, v149, 0, 13
	v_lshl_or_b32 v135, v55, 12, v83
	s_wait_alu 0xfffd
	v_cndmask_b32_e64 v83, 0, 1, vcc_lo
	v_cmp_ne_u32_e32 vcc_lo, 0, v84
	v_lshrrev_b32_e32 v149, v110, v121
	v_or_b32_e32 v157, 0x1000, v86
	v_cmp_ne_u32_e64 s2, v104, v109
	v_lshl_or_b32 v104, v69, 12, v86
	s_wait_alu 0xf1ff
	v_cndmask_b32_e64 v86, 0, 1, s7
	v_cmp_ne_u32_e64 s7, 0, v88
	v_and_or_b32 v90, 0xffe, v124, v90
	v_or_b32_e32 v124, 0x1000, v72
	v_and_or_b32 v94, 0xffe, v136, v94
	v_lshl_or_b32 v136, v54, 12, v84
	s_wait_alu 0xfffd
	v_cndmask_b32_e64 v84, 0, 1, vcc_lo
	v_cmp_ne_u32_e32 vcc_lo, 0, v85
	v_or_b32_e32 v158, 0x1000, v88
	v_lshlrev_b32_e32 v110, v110, v149
	v_lshl_or_b32 v109, v68, 12, v88
	s_wait_alu 0xf1ff
	v_cndmask_b32_e64 v88, 0, 1, s7
	v_cmp_ne_u32_e64 s7, 0, v89
	v_sub_nc_u32_e32 v145, 0x3f1, v119
	v_sub_nc_u32_e32 v151, 0x3f1, v137
	v_add_nc_u32_e32 v62, 0xfffffc10, v137
	v_med3_i32 v119, v150, 0, 13
	v_lshl_or_b32 v137, v53, 12, v85
	s_wait_alu 0xfffd
	v_cndmask_b32_e64 v85, 0, 1, vcc_lo
	v_cmp_ne_u32_e32 vcc_lo, 0, v72
	v_lshrrev_b32_e32 v150, v112, v124
	v_or_b32_e32 v159, 0x1000, v89
	v_cmp_ne_u32_e64 s3, v110, v121
	v_lshl_or_b32 v110, v67, 12, v89
	s_wait_alu 0xf1ff
	v_cndmask_b32_e64 v89, 0, 1, s7
	v_cmp_ne_u32_e64 s7, 0, v90
	v_add_nc_u32_e32 v65, 0xfffffc10, v128
	v_or_b32_e32 v126, 0x1000, v74
	v_lshl_or_b32 v138, v52, 12, v72
	s_wait_alu 0xfffd
	v_cndmask_b32_e64 v72, 0, 1, vcc_lo
	v_cmp_ne_u32_e32 vcc_lo, 0, v74
	v_or_b32_e32 v160, 0x1000, v90
	v_lshlrev_b32_e32 v112, v112, v150
	v_lshl_or_b32 v121, v66, 12, v90
	s_wait_alu 0xf1ff
	v_cndmask_b32_e64 v90, 0, 1, s7
	v_cmp_ne_u32_e64 s7, 0, v91
	v_med3_i32 v120, v151, 0, 13
	v_and_or_b32 v95, 0xffe, v139, v95
	v_lshl_or_b32 v139, v51, 12, v74
	s_wait_alu 0xfffd
	v_cndmask_b32_e64 v74, 0, 1, vcc_lo
	v_cmp_ne_u32_e32 vcc_lo, 0, v76
	v_lshrrev_b32_e32 v151, v114, v126
	v_or_b32_e32 v161, 0x1000, v91
	v_cmp_ne_u32_e64 s4, v112, v124
	v_lshl_or_b32 v112, v65, 12, v91
	s_wait_alu 0xf1ff
	v_cndmask_b32_e64 v91, 0, 1, s7
	v_cmp_ne_u32_e64 s7, 0, v92
	v_med3_i32 v117, v117, 0, 13
	v_med3_i32 v118, v118, 0, 13
	v_sub_nc_u32_e32 v153, 0x3f1, v143
	v_add_nc_u32_e32 v61, 0xfffffc10, v140
	v_or_b32_e32 v128, 0x1000, v78
	v_or_b32_e32 v129, 0x1000, v87
	v_lshl_or_b32 v140, v50, 12, v76
	s_wait_alu 0xfffd
	v_cndmask_b32_e64 v76, 0, 1, vcc_lo
	v_cmp_ne_u32_e32 vcc_lo, 0, v78
	v_lshrrev_b32_e32 v143, v98, v125
	v_or_b32_e32 v162, 0x1000, v92
	v_lshlrev_b32_e32 v114, v114, v151
	v_lshl_or_b32 v124, v64, 12, v92
	s_wait_alu 0xf1ff
	v_cndmask_b32_e64 v92, 0, 1, s7
	v_cmp_ne_u32_e64 s7, 0, v93
	v_med3_i32 v144, v144, 0, 13
	v_med3_i32 v123, v153, 0, 13
	v_lshl_or_b32 v141, v49, 12, v78
	s_wait_alu 0xfffd
	v_cndmask_b32_e64 v78, 0, 1, vcc_lo
	v_cmp_ne_u32_e32 vcc_lo, 0, v87
	v_lshrrev_b32_e32 v153, v117, v128
	v_lshrrev_b32_e32 v154, v118, v129
	v_lshlrev_b32_e32 v98, v98, v143
	v_or_b32_e32 v163, 0x1000, v93
	v_cmp_ne_u32_e64 s5, v114, v126
	v_lshl_or_b32 v114, v63, 12, v93
	s_wait_alu 0xf1ff
	v_cndmask_b32_e64 v93, 0, 1, s7
	v_cmp_ne_u32_e64 s7, 0, v94
	v_med3_i32 v107, v145, 0, 13
	v_lshl_or_b32 v142, v48, 12, v87
	s_wait_alu 0xfffd
	v_cndmask_b32_e64 v87, 0, 1, vcc_lo
	v_lshrrev_b32_e32 v145, v99, v75
	v_cmp_ne_u32_e32 vcc_lo, v98, v125
	v_or_b32_e32 v98, 0x1000, v94
	v_lshrrev_b32_e32 v102, v144, v130
	v_lshl_or_b32 v126, v62, 12, v94
	v_lshlrev_b32_e32 v117, v117, v153
	s_wait_alu 0xf1ff
	v_cndmask_b32_e64 v94, 0, 1, s7
	v_cmp_ne_u32_e64 s7, 0, v95
	v_lshlrev_b32_e32 v118, v118, v154
	v_or_b32_e32 v125, 0x1000, v95
	v_lshl_or_b32 v115, v61, 12, v95
	v_lshlrev_b32_e32 v99, v99, v145
	s_wait_alu 0xf1ff
	v_cndmask_b32_e64 v95, 0, 1, s7
	v_cmp_ne_u32_e64 s7, v117, v128
	v_lshrrev_b32_e32 v117, v103, v156
	v_cmp_ne_u32_e64 s8, v118, v129
	v_lshrrev_b32_e32 v118, v100, v155
	v_lshlrev_b32_e32 v144, v144, v102
	v_lshrrev_b32_e32 v129, v105, v157
	v_lshlrev_b32_e32 v103, v103, v117
	v_lshrrev_b32_e32 v128, v107, v158
	v_lshlrev_b32_e32 v100, v100, v118
	v_cmp_ne_u32_e64 s11, v144, v130
	s_wait_alu 0xfffd
	v_cndmask_b32_e64 v144, 0, 1, vcc_lo
	v_cmp_ne_u32_e32 vcc_lo, v99, v75
	v_cmp_ne_u32_e64 s9, v103, v156
	v_lshrrev_b32_e32 v103, v108, v159
	v_lshlrev_b32_e32 v105, v105, v129
	v_lshlrev_b32_e32 v107, v107, v128
	s_wait_alu 0xfffd
	v_cndmask_b32_e64 v99, 0, 1, vcc_lo
	v_cmp_ne_u32_e32 vcc_lo, v100, v155
	v_lshrrev_b32_e32 v156, v111, v160
	s_wait_alu 0xf1ff
	v_cndmask_b32_e64 v130, 0, 1, s11
	v_lshlrev_b32_e32 v108, v108, v103
	v_cmp_ne_u32_e64 s10, v107, v158
	s_wait_alu 0xfffd
	v_cndmask_b32_e64 v100, 0, 1, vcc_lo
	v_cmp_ne_u32_e32 vcc_lo, v105, v157
	v_lshrrev_b32_e32 v107, v113, v161
	v_or_b32_e32 v102, v102, v130
	v_cndmask_b32_e64 v130, 0, 1, s0
	v_lshlrev_b32_e32 v111, v111, v156
	s_wait_alu 0xfffd
	v_cndmask_b32_e64 v105, 0, 1, vcc_lo
	v_cmp_ne_u32_e32 vcc_lo, v108, v159
	v_lshrrev_b32_e32 v158, v116, v162
	v_or_b32_e32 v143, v143, v144
	v_cndmask_b32_e64 v144, 0, 1, s1
	v_or_b32_e32 v130, v146, v130
	v_cndmask_b32_e64 v146, 0, 1, s3
	v_lshlrev_b32_e32 v113, v113, v107
	s_wait_alu 0xfffd
	v_cndmask_b32_e64 v108, 0, 1, vcc_lo
	v_cmp_ne_u32_e32 vcc_lo, v111, v160
	v_lshrrev_b32_e32 v75, v119, v163
	v_or_b32_e32 v99, v145, v99
	v_cndmask_b32_e64 v145, 0, 1, s2
	v_or_b32_e32 v144, v147, v144
	v_cndmask_b32_e64 v147, 0, 1, s4
	;; [unrolled: 2-line block ×3, first 2 shown]
	v_lshlrev_b32_e32 v116, v116, v158
	s_wait_alu 0xfffd
	v_cndmask_b32_e64 v111, 0, 1, vcc_lo
	v_cmp_ne_u32_e32 vcc_lo, v113, v161
	v_or_b32_e32 v145, v148, v145
	v_cndmask_b32_e64 v148, 0, 1, s5
	v_or_b32_e32 v147, v150, v147
	v_cndmask_b32_e64 v150, 0, 1, s7
	v_or_b32_e32 v149, v152, v149
	v_lshrrev_b32_e32 v152, v120, v98
	v_lshlrev_b32_e32 v119, v119, v75
	s_wait_alu 0xfffd
	v_cndmask_b32_e64 v113, 0, 1, vcc_lo
	v_cmp_ne_u32_e32 vcc_lo, v116, v162
	v_or_b32_e32 v148, v151, v148
	v_cndmask_b32_e64 v151, 0, 1, s8
	v_or_b32_e32 v150, v153, v150
	v_lshrrev_b32_e32 v153, v122, v125
	v_lshlrev_b32_e32 v120, v120, v152
	s_wait_alu 0xfffd
	v_cndmask_b32_e64 v116, 0, 1, vcc_lo
	v_cmp_ne_u32_e32 vcc_lo, v119, v163
	v_or_b32_e32 v151, v154, v151
	v_lshrrev_b32_e32 v154, v123, v79
	v_lshlrev_b32_e32 v122, v122, v153
	v_or_b32_e32 v100, v118, v100
	s_wait_alu 0xfffd
	v_cndmask_b32_e64 v119, 0, 1, vcc_lo
	v_cmp_ne_u32_e32 vcc_lo, v120, v98
	v_lshlrev_b32_e32 v123, v123, v154
	v_or_b32_e32 v103, v103, v108
	s_wait_alu 0xf1ff
	v_cndmask_b32_e64 v157, 0, 1, s10
	v_or_b32_e32 v107, v107, v113
	s_wait_alu 0xfffd
	v_cndmask_b32_e64 v98, 0, 1, vcc_lo
	v_cmp_ne_u32_e32 vcc_lo, v122, v125
	v_or_b32_e32 v75, v75, v119
	v_or_b32_e32 v122, v128, v157
	;; [unrolled: 1-line block ×3, first 2 shown]
	v_cndmask_b32_e64 v155, 0, 1, s9
	s_wait_alu 0xfffd
	v_cndmask_b32_e64 v120, 0, 1, vcc_lo
	v_cmp_ne_u32_e32 vcc_lo, v123, v79
	v_or_b32_e32 v111, v156, v111
	v_or_b32_e32 v116, v158, v116
	v_or_b32_e32 v117, v117, v155
	v_or_b32_e32 v98, v152, v98
	s_wait_alu 0xfffd
	v_cndmask_b32_e64 v79, 0, 1, vcc_lo
	v_cmp_gt_i32_e32 vcc_lo, 1, v59
	v_or_b32_e32 v120, v153, v120
	v_lshl_or_b32 v96, v96, 9, 0x7c00
	v_lshl_or_b32 v80, v80, 9, 0x7c00
	v_or_b32_e32 v79, v154, v79
	s_wait_alu 0xfffd
	v_cndmask_b32_e32 v102, v131, v102, vcc_lo
	v_cmp_gt_i32_e32 vcc_lo, 1, v58
	v_lshl_or_b32 v81, v81, 9, 0x7c00
	v_lshl_or_b32 v82, v82, 9, 0x7c00
	v_lshl_or_b32 v83, v83, 9, 0x7c00
	v_lshl_or_b32 v84, v84, 9, 0x7c00
	s_wait_alu 0xfffd
	v_cndmask_b32_e32 v118, v132, v143, vcc_lo
	v_cmp_gt_i32_e32 vcc_lo, 1, v57
	v_lshl_or_b32 v85, v85, 9, 0x7c00
	v_lshl_or_b32 v72, v72, 9, 0x7c00
	v_lshl_or_b32 v74, v74, 9, 0x7c00
	v_lshl_or_b32 v76, v76, 9, 0x7c00
	;; [unrolled: 7-line block ×5, first 2 shown]
	s_wait_alu 0xfffd
	v_cndmask_b32_e32 v125, v136, v145, vcc_lo
	v_cmp_gt_i32_e32 vcc_lo, 1, v53
	v_lshl_or_b32 v95, v95, 9, 0x7c00
	s_wait_alu 0xfffd
	v_cndmask_b32_e32 v113, v137, v146, vcc_lo
	v_cmp_gt_i32_e32 vcc_lo, 1, v52
	s_wait_alu 0xfffd
	v_cndmask_b32_e32 v128, v138, v147, vcc_lo
	v_cmp_gt_i32_e32 vcc_lo, 1, v51
	;; [unrolled: 3-line block ×8, first 2 shown]
	v_and_b32_e32 v117, 7, v125
	v_lshrrev_b32_e32 v125, 2, v125
	s_wait_alu 0xfffd
	v_cndmask_b32_e32 v104, v104, v105, vcc_lo
	v_cmp_gt_i32_e32 vcc_lo, 1, v68
	v_cmp_lt_i32_e64 s9, 5, v117
	v_cmp_eq_u32_e64 s10, 3, v117
	s_wait_alu 0xfffd
	v_cndmask_b32_e32 v105, v109, v122, vcc_lo
	v_cmp_gt_i32_e32 vcc_lo, 1, v67
	v_and_b32_e32 v122, 7, v119
	v_lshrrev_b32_e32 v119, 2, v119
	s_wait_alu 0xfffd
	v_cndmask_b32_e32 v103, v110, v103, vcc_lo
	v_cmp_gt_i32_e32 vcc_lo, 1, v66
	v_cmp_lt_i32_e64 s15, 5, v122
	v_cmp_eq_u32_e64 s16, 3, v122
	s_wait_alu 0xfffd
	v_cndmask_b32_e32 v106, v121, v111, vcc_lo
	v_cmp_gt_i32_e32 vcc_lo, 1, v65
	v_and_b32_e32 v111, 7, v102
	v_lshrrev_b32_e32 v102, 2, v102
	v_and_b32_e32 v121, 7, v128
	v_lshrrev_b32_e32 v128, 2, v128
	s_wait_alu 0xfffd
	v_cndmask_b32_e32 v107, v112, v107, vcc_lo
	v_cmp_gt_i32_e32 vcc_lo, 1, v64
	v_and_b32_e32 v112, 7, v118
	v_cmp_eq_u32_e64 s0, 3, v111
	v_lshrrev_b32_e32 v118, 2, v118
	v_cmp_lt_i32_e64 s13, 5, v121
	s_wait_alu 0xfffd
	v_cndmask_b32_e32 v109, v124, v116, vcc_lo
	v_cmp_gt_i32_e32 vcc_lo, 1, v63
	v_cmp_lt_i32_e64 s1, 5, v112
	v_cmp_eq_u32_e64 s2, 3, v112
	v_and_b32_e32 v116, 7, v108
	s_wait_alu 0xfffd
	v_dual_cndmask_b32 v75, v114, v75 :: v_dual_and_b32 v112, 7, v101
	v_cmp_gt_i32_e32 vcc_lo, 1, v62
	v_and_b32_e32 v114, 7, v99
	v_lshrrev_b32_e32 v99, 2, v99
	v_cmp_lt_i32_e64 s7, 5, v116
	v_cmp_eq_u32_e64 s8, 3, v116
	s_wait_alu 0xfffd
	v_cndmask_b32_e32 v98, v126, v98, vcc_lo
	v_cmp_gt_i32_e32 vcc_lo, 1, v61
	v_cmp_lt_i32_e64 s3, 5, v114
	v_cmp_eq_u32_e64 s4, 3, v114
	v_lshrrev_b32_e32 v108, 2, v108
	v_cmp_lt_i32_e64 s25, 5, v112
	s_wait_alu 0xfffd
	v_cndmask_b32_e32 v110, v115, v120, vcc_lo
	v_cmp_gt_i32_e32 vcc_lo, 1, v60
	v_and_b32_e32 v115, 7, v123
	v_lshrrev_b32_e32 v123, 2, v123
	v_and_b32_e32 v120, 7, v113
	v_cmp_eq_u32_e64 s26, 3, v112
	s_wait_alu 0xfffd
	v_cndmask_b32_e32 v79, v127, v79, vcc_lo
	v_cmp_lt_i32_e32 vcc_lo, 5, v111
	v_and_b32_e32 v111, 7, v100
	v_cmp_lt_i32_e64 s5, 5, v115
	v_cmp_eq_u32_e64 s6, 3, v115
	v_and_b32_e32 v114, 7, v104
	s_or_b32 vcc_lo, s0, vcc_lo
	v_cmp_lt_i32_e64 s23, 5, v111
	s_wait_alu 0xfffe
	v_add_co_ci_u32_e32 v102, vcc_lo, 0, v102, vcc_lo
	s_or_b32 vcc_lo, s2, s1
	v_cmp_eq_u32_e64 s24, 3, v111
	s_wait_alu 0xfffe
	v_add_co_ci_u32_e32 v111, vcc_lo, 0, v118, vcc_lo
	s_or_b32 vcc_lo, s4, s3
	v_cmp_lt_i32_e64 s11, 5, v120
	s_wait_alu 0xfffe
	v_add_co_ci_u32_e32 v99, vcc_lo, 0, v99, vcc_lo
	s_or_b32 vcc_lo, s6, s5
	v_cmp_eq_u32_e64 s12, 3, v120
	s_wait_alu 0xfffe
	v_add_co_ci_u32_e32 v112, vcc_lo, 0, v123, vcc_lo
	s_or_b32 vcc_lo, s8, s7
	v_lshrrev_b32_e32 v113, 2, v113
	s_wait_alu 0xfffe
	v_add_co_ci_u32_e32 v108, vcc_lo, 0, v108, vcc_lo
	s_or_b32 vcc_lo, s10, s9
	v_cmp_eq_u32_e64 s14, 3, v121
	v_and_b32_e32 v124, 7, v129
	v_cmp_lt_i32_e64 s27, 5, v114
	v_cmp_eq_u32_e64 s28, 3, v114
	s_wait_alu 0xfffe
	v_add_co_ci_u32_e32 v114, vcc_lo, 0, v125, vcc_lo
	v_and_b32_e32 v115, 7, v105
	s_or_b32 vcc_lo, s12, s11
	v_and_b32_e32 v126, 7, v130
	s_wait_alu 0xfffe
	v_add_co_ci_u32_e32 v113, vcc_lo, 0, v113, vcc_lo
	v_and_b32_e32 v116, 7, v103
	s_or_b32 vcc_lo, s14, s13
	v_cmp_lt_i32_e64 s17, 5, v124
	v_cmp_eq_u32_e64 s18, 3, v124
	v_and_b32_e32 v127, 7, v131
	v_cmp_lt_i32_e64 s29, 5, v115
	v_cmp_eq_u32_e64 s30, 3, v115
	s_wait_alu 0xfffe
	v_add_co_ci_u32_e32 v115, vcc_lo, 0, v128, vcc_lo
	v_lshrrev_b32_e32 v129, 2, v129
	v_and_b32_e32 v117, 7, v106
	s_or_b32 vcc_lo, s16, s15
	v_cmp_lt_i32_e64 s19, 5, v126
	v_cmp_eq_u32_e64 s20, 3, v126
	v_cmp_lt_i32_e64 s31, 5, v116
	v_cmp_eq_u32_e64 s33, 3, v116
	s_wait_alu 0xfffe
	v_add_co_ci_u32_e32 v116, vcc_lo, 0, v119, vcc_lo
	v_lshrrev_b32_e32 v130, 2, v130
	s_or_b32 vcc_lo, s18, s17
	v_cmp_lt_i32_e64 s21, 5, v127
	v_cmp_eq_u32_e64 s22, 3, v127
	v_cmp_lt_i32_e64 s34, 5, v117
	v_cmp_eq_u32_e64 s35, 3, v117
	s_wait_alu 0xfffe
	v_add_co_ci_u32_e32 v117, vcc_lo, 0, v129, vcc_lo
	v_lshrrev_b32_e32 v131, 2, v131
	s_or_b32 vcc_lo, s20, s19
	v_lshrrev_b32_e32 v100, 2, v100
	s_wait_alu 0xfffe
	v_add_co_ci_u32_e32 v118, vcc_lo, 0, v130, vcc_lo
	s_or_b32 vcc_lo, s22, s21
	v_lshrrev_b32_e32 v101, 2, v101
	s_wait_alu 0xfffe
	v_add_co_ci_u32_e32 v119, vcc_lo, 0, v131, vcc_lo
	;; [unrolled: 4-line block ×3, first 2 shown]
	v_cmp_gt_i32_e32 vcc_lo, 31, v59
	v_lshrrev_b32_e32 v105, 2, v105
	v_and_b32_e32 v120, 7, v107
	v_lshrrev_b32_e32 v103, 2, v103
	s_wait_alu 0xfffd
	v_dual_cndmask_b32 v102, 0x7c00, v102 :: v_dual_and_b32 v121, 7, v109
	s_or_b32 vcc_lo, s26, s25
	v_lshrrev_b32_e32 v106, 2, v106
	s_wait_alu 0xfffe
	v_add_co_ci_u32_e32 v101, vcc_lo, 0, v101, vcc_lo
	v_cmp_gt_i32_e32 vcc_lo, 31, v58
	v_cmp_lt_i32_e64 s36, 5, v120
	v_cmp_eq_u32_e64 s37, 3, v120
	v_and_b32_e32 v122, 7, v75
	v_lshrrev_b32_e32 v107, 2, v107
	s_wait_alu 0xfffd
	v_cndmask_b32_e32 v111, 0x7c00, v111, vcc_lo
	v_cmp_gt_i32_e32 vcc_lo, 31, v57
	v_cmp_lt_i32_e64 s38, 5, v121
	v_cmp_eq_u32_e64 s39, 3, v121
	v_and_b32_e32 v124, 7, v98
	v_lshrrev_b32_e32 v109, 2, v109
	s_wait_alu 0xfffd
	v_cndmask_b32_e32 v99, 0x7c00, v99, vcc_lo
	;; [unrolled: 7-line block ×4, first 2 shown]
	v_cmp_gt_i32_e32 vcc_lo, 31, v54
	v_cmp_lt_i32_e64 s44, 5, v126
	v_cmp_eq_u32_e64 s45, 3, v126
	v_lshrrev_b32_e32 v110, 2, v110
	v_cmp_lt_i32_e64 s46, 5, v127
	s_wait_alu 0xfffd
	v_cndmask_b32_e32 v114, 0x7c00, v114, vcc_lo
	v_cmp_gt_i32_e32 vcc_lo, 31, v53
	v_cmp_eq_u32_e64 s47, 3, v127
	v_lshrrev_b32_e32 v79, 2, v79
	s_wait_alu 0xfffd
	v_cndmask_b32_e32 v113, 0x7c00, v113, vcc_lo
	v_cmp_gt_i32_e32 vcc_lo, 31, v52
	s_wait_alu 0xfffd
	v_cndmask_b32_e32 v115, 0x7c00, v115, vcc_lo
	v_cmp_gt_i32_e32 vcc_lo, 31, v51
	;; [unrolled: 3-line block ×5, first 2 shown]
	s_wait_alu 0xfffd
	v_cndmask_b32_e32 v119, 0x7c00, v119, vcc_lo
	s_or_b32 vcc_lo, s28, s27
	s_wait_alu 0xfffe
	v_add_co_ci_u32_e32 v104, vcc_lo, 0, v104, vcc_lo
	s_or_b32 vcc_lo, s30, s29
	s_wait_alu 0xfffe
	v_add_co_ci_u32_e32 v105, vcc_lo, 0, v105, vcc_lo
	;; [unrolled: 3-line block ×10, first 2 shown]
	v_cmp_gt_i32_e32 vcc_lo, 31, v71
	s_wait_alu 0xfffd
	v_cndmask_b32_e32 v100, 0x7c00, v100, vcc_lo
	v_cmp_eq_u32_e32 vcc_lo, 0x40f, v59
	s_wait_alu 0xfffd
	v_cndmask_b32_e32 v59, v102, v96, vcc_lo
	v_cmp_gt_i32_e32 vcc_lo, 31, v70
	s_delay_alu instid0(VALU_DEP_2)
	v_and_or_b32 v35, 0x8000, v35, v59
	s_wait_alu 0xfffd
	v_cndmask_b32_e32 v96, 0x7c00, v101, vcc_lo
	v_cmp_eq_u32_e32 vcc_lo, 0x40f, v58
	s_wait_alu 0xfffd
	v_cndmask_b32_e32 v58, v111, v80, vcc_lo
	v_cmp_eq_u32_e32 vcc_lo, 0x40f, v57
	s_delay_alu instid0(VALU_DEP_2) | instskip(SKIP_3) | instid1(VALU_DEP_2)
	v_and_or_b32 v34, 0x8000, v34, v58
	s_wait_alu 0xfffd
	v_cndmask_b32_e32 v57, v99, v81, vcc_lo
	v_cmp_eq_u32_e32 vcc_lo, 0x40f, v56
	v_and_or_b32 v33, 0x8000, v33, v57
	s_wait_alu 0xfffd
	v_cndmask_b32_e32 v56, v112, v82, vcc_lo
	v_cmp_eq_u32_e32 vcc_lo, 0x40f, v55
	s_delay_alu instid0(VALU_DEP_2) | instskip(SKIP_3) | instid1(VALU_DEP_2)
	v_and_or_b32 v32, 0x8000, v32, v56
	s_wait_alu 0xfffd
	v_cndmask_b32_e32 v55, v108, v83, vcc_lo
	v_cmp_eq_u32_e32 vcc_lo, 0x40f, v54
	v_and_or_b32 v31, 0x8000, v31, v55
	;; [unrolled: 9-line block ×5, first 2 shown]
	s_wait_alu 0xfffd
	v_cndmask_b32_e32 v48, v119, v87, vcc_lo
	v_cmp_gt_i32_e32 vcc_lo, 31, v69
	s_delay_alu instid0(VALU_DEP_2)
	v_and_or_b32 v24, 0x8000, v24, v48
	s_wait_alu 0xfffd
	v_cndmask_b32_e32 v72, 0x7c00, v104, vcc_lo
	v_cmp_gt_i32_e32 vcc_lo, 31, v68
	s_wait_alu 0xfffd
	v_cndmask_b32_e32 v74, 0x7c00, v105, vcc_lo
	v_cmp_gt_i32_e32 vcc_lo, 31, v67
	;; [unrolled: 3-line block ×9, first 2 shown]
	s_wait_alu 0xfffd
	v_cndmask_b32_e32 v79, 0x7c00, v79, vcc_lo
	v_cmp_eq_u32_e32 vcc_lo, 0x40f, v71
	s_wait_alu 0xfffd
	v_cndmask_b32_e32 v71, v100, v73, vcc_lo
	v_cmp_eq_u32_e32 vcc_lo, 0x40f, v70
	s_delay_alu instid0(VALU_DEP_2) | instskip(SKIP_3) | instid1(VALU_DEP_3)
	v_and_or_b32 v36, 0x8000, v36, v71
	s_wait_alu 0xfffd
	v_cndmask_b32_e32 v59, v96, v77, vcc_lo
	v_cmp_eq_u32_e32 vcc_lo, 0x40f, v69
	v_and_b32_e32 v36, 0xffff, v36
	s_delay_alu instid0(VALU_DEP_3)
	v_and_or_b32 v37, 0x8000, v37, v59
	s_wait_alu 0xfffd
	v_cndmask_b32_e32 v58, v72, v86, vcc_lo
	v_cmp_eq_u32_e32 vcc_lo, 0x40f, v68
	v_lshl_or_b32 v35, v35, 16, v36
	v_and_b32_e32 v37, 0xffff, v37
	s_delay_alu instid0(VALU_DEP_4)
	v_and_or_b32 v38, 0x8000, v38, v58
	s_wait_alu 0xfffd
	v_cndmask_b32_e32 v57, v74, v88, vcc_lo
	v_cmp_eq_u32_e32 vcc_lo, 0x40f, v67
	v_lshl_or_b32 v34, v34, 16, v37
	v_and_b32_e32 v38, 0xffff, v38
	s_delay_alu instid0(VALU_DEP_4)
	;; [unrolled: 7-line block ×8, first 2 shown]
	v_and_or_b32 v45, 0x8000, v45, v51
	s_wait_alu 0xfffd
	v_cndmask_b32_e32 v50, v83, v95, vcc_lo
	v_cmp_eq_u32_e32 vcc_lo, 0x40f, v60
	v_lshl_or_b32 v27, v27, 16, v44
	v_and_b32_e32 v45, 0xffff, v45
	s_delay_alu instid0(VALU_DEP_4) | instskip(SKIP_2) | instid1(VALU_DEP_3)
	v_and_or_b32 v46, 0x8000, v46, v50
	s_wait_alu 0xfffd
	v_cndmask_b32_e32 v49, v79, v97, vcc_lo
	v_lshl_or_b32 v26, v26, 16, v45
	s_delay_alu instid0(VALU_DEP_3) | instskip(NEXT) | instid1(VALU_DEP_3)
	v_and_b32_e32 v46, 0xffff, v46
	v_and_or_b32 v47, 0x8000, v47, v49
	s_delay_alu instid0(VALU_DEP_2) | instskip(NEXT) | instid1(VALU_DEP_2)
	v_lshl_or_b32 v25, v25, 16, v46
	v_and_b32_e32 v47, 0xffff, v47
	s_delay_alu instid0(VALU_DEP_1)
	v_lshl_or_b32 v24, v24, 16, v47
	s_clause 0x4
	global_store_b32 v[0:1], v35, off
	global_store_b32 v[2:3], v34, off
	global_store_b32 v[4:5], v33, off
	global_store_b32 v[6:7], v32, off
	global_store_b32 v[8:9], v31, off
	global_store_b32 v[10:11], v30, off
	global_store_b32 v[12:13], v29, off
	global_store_b32 v[14:15], v28, off
	global_store_b32 v[16:17], v27, off
	global_store_b32 v[18:19], v26, off
	global_store_b32 v[20:21], v25, off
	global_store_b32 v[22:23], v24, off
.LBB0_2:
	s_nop 0
	s_sendmsg sendmsg(MSG_DEALLOC_VGPRS)
	s_endpgm
	.section	.rodata,"a",@progbits
	.p2align	6, 0x0
	.amdhsa_kernel bluestein_single_fwd_len2916_dim1_half_op_CI_CI
		.amdhsa_group_segment_fixed_size 11664
		.amdhsa_private_segment_fixed_size 0
		.amdhsa_kernarg_size 104
		.amdhsa_user_sgpr_count 2
		.amdhsa_user_sgpr_dispatch_ptr 0
		.amdhsa_user_sgpr_queue_ptr 0
		.amdhsa_user_sgpr_kernarg_segment_ptr 1
		.amdhsa_user_sgpr_dispatch_id 0
		.amdhsa_user_sgpr_private_segment_size 0
		.amdhsa_wavefront_size32 1
		.amdhsa_uses_dynamic_stack 0
		.amdhsa_enable_private_segment 0
		.amdhsa_system_sgpr_workgroup_id_x 1
		.amdhsa_system_sgpr_workgroup_id_y 0
		.amdhsa_system_sgpr_workgroup_id_z 0
		.amdhsa_system_sgpr_workgroup_info 0
		.amdhsa_system_vgpr_workitem_id 0
		.amdhsa_next_free_vgpr 164
		.amdhsa_next_free_sgpr 48
		.amdhsa_reserve_vcc 1
		.amdhsa_float_round_mode_32 0
		.amdhsa_float_round_mode_16_64 0
		.amdhsa_float_denorm_mode_32 3
		.amdhsa_float_denorm_mode_16_64 3
		.amdhsa_fp16_overflow 0
		.amdhsa_workgroup_processor_mode 1
		.amdhsa_memory_ordered 1
		.amdhsa_forward_progress 0
		.amdhsa_round_robin_scheduling 0
		.amdhsa_exception_fp_ieee_invalid_op 0
		.amdhsa_exception_fp_denorm_src 0
		.amdhsa_exception_fp_ieee_div_zero 0
		.amdhsa_exception_fp_ieee_overflow 0
		.amdhsa_exception_fp_ieee_underflow 0
		.amdhsa_exception_fp_ieee_inexact 0
		.amdhsa_exception_int_div_zero 0
	.end_amdhsa_kernel
	.text
.Lfunc_end0:
	.size	bluestein_single_fwd_len2916_dim1_half_op_CI_CI, .Lfunc_end0-bluestein_single_fwd_len2916_dim1_half_op_CI_CI
                                        ; -- End function
	.section	.AMDGPU.csdata,"",@progbits
; Kernel info:
; codeLenInByte = 22744
; NumSgprs: 50
; NumVgprs: 164
; ScratchSize: 0
; MemoryBound: 0
; FloatMode: 240
; IeeeMode: 1
; LDSByteSize: 11664 bytes/workgroup (compile time only)
; SGPRBlocks: 6
; VGPRBlocks: 20
; NumSGPRsForWavesPerEU: 50
; NumVGPRsForWavesPerEU: 164
; Occupancy: 9
; WaveLimiterHint : 1
; COMPUTE_PGM_RSRC2:SCRATCH_EN: 0
; COMPUTE_PGM_RSRC2:USER_SGPR: 2
; COMPUTE_PGM_RSRC2:TRAP_HANDLER: 0
; COMPUTE_PGM_RSRC2:TGID_X_EN: 1
; COMPUTE_PGM_RSRC2:TGID_Y_EN: 0
; COMPUTE_PGM_RSRC2:TGID_Z_EN: 0
; COMPUTE_PGM_RSRC2:TIDIG_COMP_CNT: 0
	.text
	.p2alignl 7, 3214868480
	.fill 96, 4, 3214868480
	.type	__hip_cuid_8440437e1b1cf0d,@object ; @__hip_cuid_8440437e1b1cf0d
	.section	.bss,"aw",@nobits
	.globl	__hip_cuid_8440437e1b1cf0d
__hip_cuid_8440437e1b1cf0d:
	.byte	0                               ; 0x0
	.size	__hip_cuid_8440437e1b1cf0d, 1

	.ident	"AMD clang version 19.0.0git (https://github.com/RadeonOpenCompute/llvm-project roc-6.4.0 25133 c7fe45cf4b819c5991fe208aaa96edf142730f1d)"
	.section	".note.GNU-stack","",@progbits
	.addrsig
	.addrsig_sym __hip_cuid_8440437e1b1cf0d
	.amdgpu_metadata
---
amdhsa.kernels:
  - .args:
      - .actual_access:  read_only
        .address_space:  global
        .offset:         0
        .size:           8
        .value_kind:     global_buffer
      - .actual_access:  read_only
        .address_space:  global
        .offset:         8
        .size:           8
        .value_kind:     global_buffer
      - .actual_access:  read_only
        .address_space:  global
        .offset:         16
        .size:           8
        .value_kind:     global_buffer
      - .actual_access:  read_only
        .address_space:  global
        .offset:         24
        .size:           8
        .value_kind:     global_buffer
      - .actual_access:  read_only
        .address_space:  global
        .offset:         32
        .size:           8
        .value_kind:     global_buffer
      - .offset:         40
        .size:           8
        .value_kind:     by_value
      - .address_space:  global
        .offset:         48
        .size:           8
        .value_kind:     global_buffer
      - .address_space:  global
        .offset:         56
        .size:           8
        .value_kind:     global_buffer
      - .address_space:  global
        .offset:         64
        .size:           8
        .value_kind:     global_buffer
      - .address_space:  global
        .offset:         72
        .size:           8
        .value_kind:     global_buffer
      - .offset:         80
        .size:           4
        .value_kind:     by_value
      - .address_space:  global
        .offset:         88
        .size:           8
        .value_kind:     global_buffer
      - .address_space:  global
        .offset:         96
        .size:           8
        .value_kind:     global_buffer
    .group_segment_fixed_size: 11664
    .kernarg_segment_align: 8
    .kernarg_segment_size: 104
    .language:       OpenCL C
    .language_version:
      - 2
      - 0
    .max_flat_workgroup_size: 243
    .name:           bluestein_single_fwd_len2916_dim1_half_op_CI_CI
    .private_segment_fixed_size: 0
    .sgpr_count:     50
    .sgpr_spill_count: 0
    .symbol:         bluestein_single_fwd_len2916_dim1_half_op_CI_CI.kd
    .uniform_work_group_size: 1
    .uses_dynamic_stack: false
    .vgpr_count:     164
    .vgpr_spill_count: 0
    .wavefront_size: 32
    .workgroup_processor_mode: 1
amdhsa.target:   amdgcn-amd-amdhsa--gfx1201
amdhsa.version:
  - 1
  - 2
...

	.end_amdgpu_metadata
